;; amdgpu-corpus repo=ROCm/rocThrust kind=compiled arch=gfx906 opt=O3
	.amdgcn_target "amdgcn-amd-amdhsa--gfx906"
	.amdhsa_code_object_version 6
	.section	.text._ZN6thrust23THRUST_200600_302600_NS11hip_rocprim14__parallel_for6kernelILj256ENS1_20__uninitialized_fill7functorINS0_10device_ptrIiEEiEEmLj1EEEvT0_T1_SA_,"axG",@progbits,_ZN6thrust23THRUST_200600_302600_NS11hip_rocprim14__parallel_for6kernelILj256ENS1_20__uninitialized_fill7functorINS0_10device_ptrIiEEiEEmLj1EEEvT0_T1_SA_,comdat
	.protected	_ZN6thrust23THRUST_200600_302600_NS11hip_rocprim14__parallel_for6kernelILj256ENS1_20__uninitialized_fill7functorINS0_10device_ptrIiEEiEEmLj1EEEvT0_T1_SA_ ; -- Begin function _ZN6thrust23THRUST_200600_302600_NS11hip_rocprim14__parallel_for6kernelILj256ENS1_20__uninitialized_fill7functorINS0_10device_ptrIiEEiEEmLj1EEEvT0_T1_SA_
	.globl	_ZN6thrust23THRUST_200600_302600_NS11hip_rocprim14__parallel_for6kernelILj256ENS1_20__uninitialized_fill7functorINS0_10device_ptrIiEEiEEmLj1EEEvT0_T1_SA_
	.p2align	8
	.type	_ZN6thrust23THRUST_200600_302600_NS11hip_rocprim14__parallel_for6kernelILj256ENS1_20__uninitialized_fill7functorINS0_10device_ptrIiEEiEEmLj1EEEvT0_T1_SA_,@function
_ZN6thrust23THRUST_200600_302600_NS11hip_rocprim14__parallel_for6kernelILj256ENS1_20__uninitialized_fill7functorINS0_10device_ptrIiEEiEEmLj1EEEvT0_T1_SA_: ; @_ZN6thrust23THRUST_200600_302600_NS11hip_rocprim14__parallel_for6kernelILj256ENS1_20__uninitialized_fill7functorINS0_10device_ptrIiEEiEEmLj1EEEvT0_T1_SA_
; %bb.0:
	s_load_dwordx4 s[12:15], s[4:5], 0x10
	s_load_dwordx2 s[0:1], s[4:5], 0x0
	s_load_dword s8, s[4:5], 0x8
	s_lshl_b32 s2, s6, 8
	v_mov_b32_e32 v1, 0xff
	s_waitcnt lgkmcnt(0)
	s_add_u32 s2, s14, s2
	s_addc_u32 s3, s15, 0
	s_sub_u32 s4, s12, s2
	v_mov_b32_e32 v2, 0
	s_subb_u32 s5, s13, s3
	v_cmp_gt_u64_e32 vcc, s[4:5], v[1:2]
	s_mov_b64 s[6:7], -1
	s_cbranch_vccz .LBB0_3
; %bb.1:
	s_andn2_b64 vcc, exec, s[6:7]
	s_cbranch_vccz .LBB0_6
.LBB0_2:
	s_endpgm
.LBB0_3:
	v_cmp_gt_u32_e32 vcc, s4, v0
	s_and_saveexec_b64 s[4:5], vcc
	s_cbranch_execz .LBB0_5
; %bb.4:
	s_lshl_b64 s[6:7], s[2:3], 2
	s_add_u32 s6, s0, s6
	s_addc_u32 s7, s1, s7
	v_lshlrev_b32_e32 v1, 2, v0
	v_mov_b32_e32 v2, s7
	v_add_co_u32_e32 v1, vcc, s6, v1
	v_addc_co_u32_e32 v2, vcc, 0, v2, vcc
	v_mov_b32_e32 v3, s8
	flat_store_dword v[1:2], v3
.LBB0_5:
	s_or_b64 exec, exec, s[4:5]
	s_cbranch_execnz .LBB0_2
.LBB0_6:
	s_lshl_b64 s[2:3], s[2:3], 2
	s_add_u32 s0, s0, s2
	s_addc_u32 s1, s1, s3
	v_lshlrev_b32_e32 v0, 2, v0
	v_mov_b32_e32 v1, s1
	v_add_co_u32_e32 v0, vcc, s0, v0
	v_addc_co_u32_e32 v1, vcc, 0, v1, vcc
	v_mov_b32_e32 v2, s8
	flat_store_dword v[0:1], v2
	s_endpgm
	.section	.rodata,"a",@progbits
	.p2align	6, 0x0
	.amdhsa_kernel _ZN6thrust23THRUST_200600_302600_NS11hip_rocprim14__parallel_for6kernelILj256ENS1_20__uninitialized_fill7functorINS0_10device_ptrIiEEiEEmLj1EEEvT0_T1_SA_
		.amdhsa_group_segment_fixed_size 0
		.amdhsa_private_segment_fixed_size 0
		.amdhsa_kernarg_size 32
		.amdhsa_user_sgpr_count 6
		.amdhsa_user_sgpr_private_segment_buffer 1
		.amdhsa_user_sgpr_dispatch_ptr 0
		.amdhsa_user_sgpr_queue_ptr 0
		.amdhsa_user_sgpr_kernarg_segment_ptr 1
		.amdhsa_user_sgpr_dispatch_id 0
		.amdhsa_user_sgpr_flat_scratch_init 0
		.amdhsa_user_sgpr_private_segment_size 0
		.amdhsa_uses_dynamic_stack 0
		.amdhsa_system_sgpr_private_segment_wavefront_offset 0
		.amdhsa_system_sgpr_workgroup_id_x 1
		.amdhsa_system_sgpr_workgroup_id_y 0
		.amdhsa_system_sgpr_workgroup_id_z 0
		.amdhsa_system_sgpr_workgroup_info 0
		.amdhsa_system_vgpr_workitem_id 0
		.amdhsa_next_free_vgpr 4
		.amdhsa_next_free_sgpr 16
		.amdhsa_reserve_vcc 1
		.amdhsa_reserve_flat_scratch 0
		.amdhsa_float_round_mode_32 0
		.amdhsa_float_round_mode_16_64 0
		.amdhsa_float_denorm_mode_32 3
		.amdhsa_float_denorm_mode_16_64 3
		.amdhsa_dx10_clamp 1
		.amdhsa_ieee_mode 1
		.amdhsa_fp16_overflow 0
		.amdhsa_exception_fp_ieee_invalid_op 0
		.amdhsa_exception_fp_denorm_src 0
		.amdhsa_exception_fp_ieee_div_zero 0
		.amdhsa_exception_fp_ieee_overflow 0
		.amdhsa_exception_fp_ieee_underflow 0
		.amdhsa_exception_fp_ieee_inexact 0
		.amdhsa_exception_int_div_zero 0
	.end_amdhsa_kernel
	.section	.text._ZN6thrust23THRUST_200600_302600_NS11hip_rocprim14__parallel_for6kernelILj256ENS1_20__uninitialized_fill7functorINS0_10device_ptrIiEEiEEmLj1EEEvT0_T1_SA_,"axG",@progbits,_ZN6thrust23THRUST_200600_302600_NS11hip_rocprim14__parallel_for6kernelILj256ENS1_20__uninitialized_fill7functorINS0_10device_ptrIiEEiEEmLj1EEEvT0_T1_SA_,comdat
.Lfunc_end0:
	.size	_ZN6thrust23THRUST_200600_302600_NS11hip_rocprim14__parallel_for6kernelILj256ENS1_20__uninitialized_fill7functorINS0_10device_ptrIiEEiEEmLj1EEEvT0_T1_SA_, .Lfunc_end0-_ZN6thrust23THRUST_200600_302600_NS11hip_rocprim14__parallel_for6kernelILj256ENS1_20__uninitialized_fill7functorINS0_10device_ptrIiEEiEEmLj1EEEvT0_T1_SA_
                                        ; -- End function
	.set _ZN6thrust23THRUST_200600_302600_NS11hip_rocprim14__parallel_for6kernelILj256ENS1_20__uninitialized_fill7functorINS0_10device_ptrIiEEiEEmLj1EEEvT0_T1_SA_.num_vgpr, 4
	.set _ZN6thrust23THRUST_200600_302600_NS11hip_rocprim14__parallel_for6kernelILj256ENS1_20__uninitialized_fill7functorINS0_10device_ptrIiEEiEEmLj1EEEvT0_T1_SA_.num_agpr, 0
	.set _ZN6thrust23THRUST_200600_302600_NS11hip_rocprim14__parallel_for6kernelILj256ENS1_20__uninitialized_fill7functorINS0_10device_ptrIiEEiEEmLj1EEEvT0_T1_SA_.numbered_sgpr, 16
	.set _ZN6thrust23THRUST_200600_302600_NS11hip_rocprim14__parallel_for6kernelILj256ENS1_20__uninitialized_fill7functorINS0_10device_ptrIiEEiEEmLj1EEEvT0_T1_SA_.num_named_barrier, 0
	.set _ZN6thrust23THRUST_200600_302600_NS11hip_rocprim14__parallel_for6kernelILj256ENS1_20__uninitialized_fill7functorINS0_10device_ptrIiEEiEEmLj1EEEvT0_T1_SA_.private_seg_size, 0
	.set _ZN6thrust23THRUST_200600_302600_NS11hip_rocprim14__parallel_for6kernelILj256ENS1_20__uninitialized_fill7functorINS0_10device_ptrIiEEiEEmLj1EEEvT0_T1_SA_.uses_vcc, 1
	.set _ZN6thrust23THRUST_200600_302600_NS11hip_rocprim14__parallel_for6kernelILj256ENS1_20__uninitialized_fill7functorINS0_10device_ptrIiEEiEEmLj1EEEvT0_T1_SA_.uses_flat_scratch, 0
	.set _ZN6thrust23THRUST_200600_302600_NS11hip_rocprim14__parallel_for6kernelILj256ENS1_20__uninitialized_fill7functorINS0_10device_ptrIiEEiEEmLj1EEEvT0_T1_SA_.has_dyn_sized_stack, 0
	.set _ZN6thrust23THRUST_200600_302600_NS11hip_rocprim14__parallel_for6kernelILj256ENS1_20__uninitialized_fill7functorINS0_10device_ptrIiEEiEEmLj1EEEvT0_T1_SA_.has_recursion, 0
	.set _ZN6thrust23THRUST_200600_302600_NS11hip_rocprim14__parallel_for6kernelILj256ENS1_20__uninitialized_fill7functorINS0_10device_ptrIiEEiEEmLj1EEEvT0_T1_SA_.has_indirect_call, 0
	.section	.AMDGPU.csdata,"",@progbits
; Kernel info:
; codeLenInByte = 188
; TotalNumSgprs: 20
; NumVgprs: 4
; ScratchSize: 0
; MemoryBound: 0
; FloatMode: 240
; IeeeMode: 1
; LDSByteSize: 0 bytes/workgroup (compile time only)
; SGPRBlocks: 2
; VGPRBlocks: 0
; NumSGPRsForWavesPerEU: 20
; NumVGPRsForWavesPerEU: 4
; Occupancy: 10
; WaveLimiterHint : 0
; COMPUTE_PGM_RSRC2:SCRATCH_EN: 0
; COMPUTE_PGM_RSRC2:USER_SGPR: 6
; COMPUTE_PGM_RSRC2:TRAP_HANDLER: 0
; COMPUTE_PGM_RSRC2:TGID_X_EN: 1
; COMPUTE_PGM_RSRC2:TGID_Y_EN: 0
; COMPUTE_PGM_RSRC2:TGID_Z_EN: 0
; COMPUTE_PGM_RSRC2:TIDIG_COMP_CNT: 0
	.section	.text._ZN7rocprim17ROCPRIM_400000_NS6detail17trampoline_kernelINS0_14default_configENS1_21merge_config_selectorIiNS0_10empty_typeEEEZNS1_10merge_implIS3_N6thrust23THRUST_200600_302600_NS6detail15normal_iteratorINS9_10device_ptrIKiEEEESF_NSB_INSC_IiEEEEPS5_SI_SI_NS9_4lessIiEEEE10hipError_tPvRmT0_T1_T2_T3_T4_T5_mmT6_P12ihipStream_tbEUlT_E_NS1_11comp_targetILNS1_3genE0ELNS1_11target_archE4294967295ELNS1_3gpuE0ELNS1_3repE0EEENS1_30default_config_static_selectorELNS0_4arch9wavefront6targetE1EEEvSP_,"axG",@progbits,_ZN7rocprim17ROCPRIM_400000_NS6detail17trampoline_kernelINS0_14default_configENS1_21merge_config_selectorIiNS0_10empty_typeEEEZNS1_10merge_implIS3_N6thrust23THRUST_200600_302600_NS6detail15normal_iteratorINS9_10device_ptrIKiEEEESF_NSB_INSC_IiEEEEPS5_SI_SI_NS9_4lessIiEEEE10hipError_tPvRmT0_T1_T2_T3_T4_T5_mmT6_P12ihipStream_tbEUlT_E_NS1_11comp_targetILNS1_3genE0ELNS1_11target_archE4294967295ELNS1_3gpuE0ELNS1_3repE0EEENS1_30default_config_static_selectorELNS0_4arch9wavefront6targetE1EEEvSP_,comdat
	.protected	_ZN7rocprim17ROCPRIM_400000_NS6detail17trampoline_kernelINS0_14default_configENS1_21merge_config_selectorIiNS0_10empty_typeEEEZNS1_10merge_implIS3_N6thrust23THRUST_200600_302600_NS6detail15normal_iteratorINS9_10device_ptrIKiEEEESF_NSB_INSC_IiEEEEPS5_SI_SI_NS9_4lessIiEEEE10hipError_tPvRmT0_T1_T2_T3_T4_T5_mmT6_P12ihipStream_tbEUlT_E_NS1_11comp_targetILNS1_3genE0ELNS1_11target_archE4294967295ELNS1_3gpuE0ELNS1_3repE0EEENS1_30default_config_static_selectorELNS0_4arch9wavefront6targetE1EEEvSP_ ; -- Begin function _ZN7rocprim17ROCPRIM_400000_NS6detail17trampoline_kernelINS0_14default_configENS1_21merge_config_selectorIiNS0_10empty_typeEEEZNS1_10merge_implIS3_N6thrust23THRUST_200600_302600_NS6detail15normal_iteratorINS9_10device_ptrIKiEEEESF_NSB_INSC_IiEEEEPS5_SI_SI_NS9_4lessIiEEEE10hipError_tPvRmT0_T1_T2_T3_T4_T5_mmT6_P12ihipStream_tbEUlT_E_NS1_11comp_targetILNS1_3genE0ELNS1_11target_archE4294967295ELNS1_3gpuE0ELNS1_3repE0EEENS1_30default_config_static_selectorELNS0_4arch9wavefront6targetE1EEEvSP_
	.globl	_ZN7rocprim17ROCPRIM_400000_NS6detail17trampoline_kernelINS0_14default_configENS1_21merge_config_selectorIiNS0_10empty_typeEEEZNS1_10merge_implIS3_N6thrust23THRUST_200600_302600_NS6detail15normal_iteratorINS9_10device_ptrIKiEEEESF_NSB_INSC_IiEEEEPS5_SI_SI_NS9_4lessIiEEEE10hipError_tPvRmT0_T1_T2_T3_T4_T5_mmT6_P12ihipStream_tbEUlT_E_NS1_11comp_targetILNS1_3genE0ELNS1_11target_archE4294967295ELNS1_3gpuE0ELNS1_3repE0EEENS1_30default_config_static_selectorELNS0_4arch9wavefront6targetE1EEEvSP_
	.p2align	8
	.type	_ZN7rocprim17ROCPRIM_400000_NS6detail17trampoline_kernelINS0_14default_configENS1_21merge_config_selectorIiNS0_10empty_typeEEEZNS1_10merge_implIS3_N6thrust23THRUST_200600_302600_NS6detail15normal_iteratorINS9_10device_ptrIKiEEEESF_NSB_INSC_IiEEEEPS5_SI_SI_NS9_4lessIiEEEE10hipError_tPvRmT0_T1_T2_T3_T4_T5_mmT6_P12ihipStream_tbEUlT_E_NS1_11comp_targetILNS1_3genE0ELNS1_11target_archE4294967295ELNS1_3gpuE0ELNS1_3repE0EEENS1_30default_config_static_selectorELNS0_4arch9wavefront6targetE1EEEvSP_,@function
_ZN7rocprim17ROCPRIM_400000_NS6detail17trampoline_kernelINS0_14default_configENS1_21merge_config_selectorIiNS0_10empty_typeEEEZNS1_10merge_implIS3_N6thrust23THRUST_200600_302600_NS6detail15normal_iteratorINS9_10device_ptrIKiEEEESF_NSB_INSC_IiEEEEPS5_SI_SI_NS9_4lessIiEEEE10hipError_tPvRmT0_T1_T2_T3_T4_T5_mmT6_P12ihipStream_tbEUlT_E_NS1_11comp_targetILNS1_3genE0ELNS1_11target_archE4294967295ELNS1_3gpuE0ELNS1_3repE0EEENS1_30default_config_static_selectorELNS0_4arch9wavefront6targetE1EEEvSP_: ; @_ZN7rocprim17ROCPRIM_400000_NS6detail17trampoline_kernelINS0_14default_configENS1_21merge_config_selectorIiNS0_10empty_typeEEEZNS1_10merge_implIS3_N6thrust23THRUST_200600_302600_NS6detail15normal_iteratorINS9_10device_ptrIKiEEEESF_NSB_INSC_IiEEEEPS5_SI_SI_NS9_4lessIiEEEE10hipError_tPvRmT0_T1_T2_T3_T4_T5_mmT6_P12ihipStream_tbEUlT_E_NS1_11comp_targetILNS1_3genE0ELNS1_11target_archE4294967295ELNS1_3gpuE0ELNS1_3repE0EEENS1_30default_config_static_selectorELNS0_4arch9wavefront6targetE1EEEvSP_
; %bb.0:
	.section	.rodata,"a",@progbits
	.p2align	6, 0x0
	.amdhsa_kernel _ZN7rocprim17ROCPRIM_400000_NS6detail17trampoline_kernelINS0_14default_configENS1_21merge_config_selectorIiNS0_10empty_typeEEEZNS1_10merge_implIS3_N6thrust23THRUST_200600_302600_NS6detail15normal_iteratorINS9_10device_ptrIKiEEEESF_NSB_INSC_IiEEEEPS5_SI_SI_NS9_4lessIiEEEE10hipError_tPvRmT0_T1_T2_T3_T4_T5_mmT6_P12ihipStream_tbEUlT_E_NS1_11comp_targetILNS1_3genE0ELNS1_11target_archE4294967295ELNS1_3gpuE0ELNS1_3repE0EEENS1_30default_config_static_selectorELNS0_4arch9wavefront6targetE1EEEvSP_
		.amdhsa_group_segment_fixed_size 0
		.amdhsa_private_segment_fixed_size 0
		.amdhsa_kernarg_size 48
		.amdhsa_user_sgpr_count 6
		.amdhsa_user_sgpr_private_segment_buffer 1
		.amdhsa_user_sgpr_dispatch_ptr 0
		.amdhsa_user_sgpr_queue_ptr 0
		.amdhsa_user_sgpr_kernarg_segment_ptr 1
		.amdhsa_user_sgpr_dispatch_id 0
		.amdhsa_user_sgpr_flat_scratch_init 0
		.amdhsa_user_sgpr_private_segment_size 0
		.amdhsa_uses_dynamic_stack 0
		.amdhsa_system_sgpr_private_segment_wavefront_offset 0
		.amdhsa_system_sgpr_workgroup_id_x 1
		.amdhsa_system_sgpr_workgroup_id_y 0
		.amdhsa_system_sgpr_workgroup_id_z 0
		.amdhsa_system_sgpr_workgroup_info 0
		.amdhsa_system_vgpr_workitem_id 0
		.amdhsa_next_free_vgpr 1
		.amdhsa_next_free_sgpr 0
		.amdhsa_reserve_vcc 0
		.amdhsa_reserve_flat_scratch 0
		.amdhsa_float_round_mode_32 0
		.amdhsa_float_round_mode_16_64 0
		.amdhsa_float_denorm_mode_32 3
		.amdhsa_float_denorm_mode_16_64 3
		.amdhsa_dx10_clamp 1
		.amdhsa_ieee_mode 1
		.amdhsa_fp16_overflow 0
		.amdhsa_exception_fp_ieee_invalid_op 0
		.amdhsa_exception_fp_denorm_src 0
		.amdhsa_exception_fp_ieee_div_zero 0
		.amdhsa_exception_fp_ieee_overflow 0
		.amdhsa_exception_fp_ieee_underflow 0
		.amdhsa_exception_fp_ieee_inexact 0
		.amdhsa_exception_int_div_zero 0
	.end_amdhsa_kernel
	.section	.text._ZN7rocprim17ROCPRIM_400000_NS6detail17trampoline_kernelINS0_14default_configENS1_21merge_config_selectorIiNS0_10empty_typeEEEZNS1_10merge_implIS3_N6thrust23THRUST_200600_302600_NS6detail15normal_iteratorINS9_10device_ptrIKiEEEESF_NSB_INSC_IiEEEEPS5_SI_SI_NS9_4lessIiEEEE10hipError_tPvRmT0_T1_T2_T3_T4_T5_mmT6_P12ihipStream_tbEUlT_E_NS1_11comp_targetILNS1_3genE0ELNS1_11target_archE4294967295ELNS1_3gpuE0ELNS1_3repE0EEENS1_30default_config_static_selectorELNS0_4arch9wavefront6targetE1EEEvSP_,"axG",@progbits,_ZN7rocprim17ROCPRIM_400000_NS6detail17trampoline_kernelINS0_14default_configENS1_21merge_config_selectorIiNS0_10empty_typeEEEZNS1_10merge_implIS3_N6thrust23THRUST_200600_302600_NS6detail15normal_iteratorINS9_10device_ptrIKiEEEESF_NSB_INSC_IiEEEEPS5_SI_SI_NS9_4lessIiEEEE10hipError_tPvRmT0_T1_T2_T3_T4_T5_mmT6_P12ihipStream_tbEUlT_E_NS1_11comp_targetILNS1_3genE0ELNS1_11target_archE4294967295ELNS1_3gpuE0ELNS1_3repE0EEENS1_30default_config_static_selectorELNS0_4arch9wavefront6targetE1EEEvSP_,comdat
.Lfunc_end1:
	.size	_ZN7rocprim17ROCPRIM_400000_NS6detail17trampoline_kernelINS0_14default_configENS1_21merge_config_selectorIiNS0_10empty_typeEEEZNS1_10merge_implIS3_N6thrust23THRUST_200600_302600_NS6detail15normal_iteratorINS9_10device_ptrIKiEEEESF_NSB_INSC_IiEEEEPS5_SI_SI_NS9_4lessIiEEEE10hipError_tPvRmT0_T1_T2_T3_T4_T5_mmT6_P12ihipStream_tbEUlT_E_NS1_11comp_targetILNS1_3genE0ELNS1_11target_archE4294967295ELNS1_3gpuE0ELNS1_3repE0EEENS1_30default_config_static_selectorELNS0_4arch9wavefront6targetE1EEEvSP_, .Lfunc_end1-_ZN7rocprim17ROCPRIM_400000_NS6detail17trampoline_kernelINS0_14default_configENS1_21merge_config_selectorIiNS0_10empty_typeEEEZNS1_10merge_implIS3_N6thrust23THRUST_200600_302600_NS6detail15normal_iteratorINS9_10device_ptrIKiEEEESF_NSB_INSC_IiEEEEPS5_SI_SI_NS9_4lessIiEEEE10hipError_tPvRmT0_T1_T2_T3_T4_T5_mmT6_P12ihipStream_tbEUlT_E_NS1_11comp_targetILNS1_3genE0ELNS1_11target_archE4294967295ELNS1_3gpuE0ELNS1_3repE0EEENS1_30default_config_static_selectorELNS0_4arch9wavefront6targetE1EEEvSP_
                                        ; -- End function
	.set _ZN7rocprim17ROCPRIM_400000_NS6detail17trampoline_kernelINS0_14default_configENS1_21merge_config_selectorIiNS0_10empty_typeEEEZNS1_10merge_implIS3_N6thrust23THRUST_200600_302600_NS6detail15normal_iteratorINS9_10device_ptrIKiEEEESF_NSB_INSC_IiEEEEPS5_SI_SI_NS9_4lessIiEEEE10hipError_tPvRmT0_T1_T2_T3_T4_T5_mmT6_P12ihipStream_tbEUlT_E_NS1_11comp_targetILNS1_3genE0ELNS1_11target_archE4294967295ELNS1_3gpuE0ELNS1_3repE0EEENS1_30default_config_static_selectorELNS0_4arch9wavefront6targetE1EEEvSP_.num_vgpr, 0
	.set _ZN7rocprim17ROCPRIM_400000_NS6detail17trampoline_kernelINS0_14default_configENS1_21merge_config_selectorIiNS0_10empty_typeEEEZNS1_10merge_implIS3_N6thrust23THRUST_200600_302600_NS6detail15normal_iteratorINS9_10device_ptrIKiEEEESF_NSB_INSC_IiEEEEPS5_SI_SI_NS9_4lessIiEEEE10hipError_tPvRmT0_T1_T2_T3_T4_T5_mmT6_P12ihipStream_tbEUlT_E_NS1_11comp_targetILNS1_3genE0ELNS1_11target_archE4294967295ELNS1_3gpuE0ELNS1_3repE0EEENS1_30default_config_static_selectorELNS0_4arch9wavefront6targetE1EEEvSP_.num_agpr, 0
	.set _ZN7rocprim17ROCPRIM_400000_NS6detail17trampoline_kernelINS0_14default_configENS1_21merge_config_selectorIiNS0_10empty_typeEEEZNS1_10merge_implIS3_N6thrust23THRUST_200600_302600_NS6detail15normal_iteratorINS9_10device_ptrIKiEEEESF_NSB_INSC_IiEEEEPS5_SI_SI_NS9_4lessIiEEEE10hipError_tPvRmT0_T1_T2_T3_T4_T5_mmT6_P12ihipStream_tbEUlT_E_NS1_11comp_targetILNS1_3genE0ELNS1_11target_archE4294967295ELNS1_3gpuE0ELNS1_3repE0EEENS1_30default_config_static_selectorELNS0_4arch9wavefront6targetE1EEEvSP_.numbered_sgpr, 0
	.set _ZN7rocprim17ROCPRIM_400000_NS6detail17trampoline_kernelINS0_14default_configENS1_21merge_config_selectorIiNS0_10empty_typeEEEZNS1_10merge_implIS3_N6thrust23THRUST_200600_302600_NS6detail15normal_iteratorINS9_10device_ptrIKiEEEESF_NSB_INSC_IiEEEEPS5_SI_SI_NS9_4lessIiEEEE10hipError_tPvRmT0_T1_T2_T3_T4_T5_mmT6_P12ihipStream_tbEUlT_E_NS1_11comp_targetILNS1_3genE0ELNS1_11target_archE4294967295ELNS1_3gpuE0ELNS1_3repE0EEENS1_30default_config_static_selectorELNS0_4arch9wavefront6targetE1EEEvSP_.num_named_barrier, 0
	.set _ZN7rocprim17ROCPRIM_400000_NS6detail17trampoline_kernelINS0_14default_configENS1_21merge_config_selectorIiNS0_10empty_typeEEEZNS1_10merge_implIS3_N6thrust23THRUST_200600_302600_NS6detail15normal_iteratorINS9_10device_ptrIKiEEEESF_NSB_INSC_IiEEEEPS5_SI_SI_NS9_4lessIiEEEE10hipError_tPvRmT0_T1_T2_T3_T4_T5_mmT6_P12ihipStream_tbEUlT_E_NS1_11comp_targetILNS1_3genE0ELNS1_11target_archE4294967295ELNS1_3gpuE0ELNS1_3repE0EEENS1_30default_config_static_selectorELNS0_4arch9wavefront6targetE1EEEvSP_.private_seg_size, 0
	.set _ZN7rocprim17ROCPRIM_400000_NS6detail17trampoline_kernelINS0_14default_configENS1_21merge_config_selectorIiNS0_10empty_typeEEEZNS1_10merge_implIS3_N6thrust23THRUST_200600_302600_NS6detail15normal_iteratorINS9_10device_ptrIKiEEEESF_NSB_INSC_IiEEEEPS5_SI_SI_NS9_4lessIiEEEE10hipError_tPvRmT0_T1_T2_T3_T4_T5_mmT6_P12ihipStream_tbEUlT_E_NS1_11comp_targetILNS1_3genE0ELNS1_11target_archE4294967295ELNS1_3gpuE0ELNS1_3repE0EEENS1_30default_config_static_selectorELNS0_4arch9wavefront6targetE1EEEvSP_.uses_vcc, 0
	.set _ZN7rocprim17ROCPRIM_400000_NS6detail17trampoline_kernelINS0_14default_configENS1_21merge_config_selectorIiNS0_10empty_typeEEEZNS1_10merge_implIS3_N6thrust23THRUST_200600_302600_NS6detail15normal_iteratorINS9_10device_ptrIKiEEEESF_NSB_INSC_IiEEEEPS5_SI_SI_NS9_4lessIiEEEE10hipError_tPvRmT0_T1_T2_T3_T4_T5_mmT6_P12ihipStream_tbEUlT_E_NS1_11comp_targetILNS1_3genE0ELNS1_11target_archE4294967295ELNS1_3gpuE0ELNS1_3repE0EEENS1_30default_config_static_selectorELNS0_4arch9wavefront6targetE1EEEvSP_.uses_flat_scratch, 0
	.set _ZN7rocprim17ROCPRIM_400000_NS6detail17trampoline_kernelINS0_14default_configENS1_21merge_config_selectorIiNS0_10empty_typeEEEZNS1_10merge_implIS3_N6thrust23THRUST_200600_302600_NS6detail15normal_iteratorINS9_10device_ptrIKiEEEESF_NSB_INSC_IiEEEEPS5_SI_SI_NS9_4lessIiEEEE10hipError_tPvRmT0_T1_T2_T3_T4_T5_mmT6_P12ihipStream_tbEUlT_E_NS1_11comp_targetILNS1_3genE0ELNS1_11target_archE4294967295ELNS1_3gpuE0ELNS1_3repE0EEENS1_30default_config_static_selectorELNS0_4arch9wavefront6targetE1EEEvSP_.has_dyn_sized_stack, 0
	.set _ZN7rocprim17ROCPRIM_400000_NS6detail17trampoline_kernelINS0_14default_configENS1_21merge_config_selectorIiNS0_10empty_typeEEEZNS1_10merge_implIS3_N6thrust23THRUST_200600_302600_NS6detail15normal_iteratorINS9_10device_ptrIKiEEEESF_NSB_INSC_IiEEEEPS5_SI_SI_NS9_4lessIiEEEE10hipError_tPvRmT0_T1_T2_T3_T4_T5_mmT6_P12ihipStream_tbEUlT_E_NS1_11comp_targetILNS1_3genE0ELNS1_11target_archE4294967295ELNS1_3gpuE0ELNS1_3repE0EEENS1_30default_config_static_selectorELNS0_4arch9wavefront6targetE1EEEvSP_.has_recursion, 0
	.set _ZN7rocprim17ROCPRIM_400000_NS6detail17trampoline_kernelINS0_14default_configENS1_21merge_config_selectorIiNS0_10empty_typeEEEZNS1_10merge_implIS3_N6thrust23THRUST_200600_302600_NS6detail15normal_iteratorINS9_10device_ptrIKiEEEESF_NSB_INSC_IiEEEEPS5_SI_SI_NS9_4lessIiEEEE10hipError_tPvRmT0_T1_T2_T3_T4_T5_mmT6_P12ihipStream_tbEUlT_E_NS1_11comp_targetILNS1_3genE0ELNS1_11target_archE4294967295ELNS1_3gpuE0ELNS1_3repE0EEENS1_30default_config_static_selectorELNS0_4arch9wavefront6targetE1EEEvSP_.has_indirect_call, 0
	.section	.AMDGPU.csdata,"",@progbits
; Kernel info:
; codeLenInByte = 0
; TotalNumSgprs: 4
; NumVgprs: 0
; ScratchSize: 0
; MemoryBound: 0
; FloatMode: 240
; IeeeMode: 1
; LDSByteSize: 0 bytes/workgroup (compile time only)
; SGPRBlocks: 0
; VGPRBlocks: 0
; NumSGPRsForWavesPerEU: 4
; NumVGPRsForWavesPerEU: 1
; Occupancy: 10
; WaveLimiterHint : 0
; COMPUTE_PGM_RSRC2:SCRATCH_EN: 0
; COMPUTE_PGM_RSRC2:USER_SGPR: 6
; COMPUTE_PGM_RSRC2:TRAP_HANDLER: 0
; COMPUTE_PGM_RSRC2:TGID_X_EN: 1
; COMPUTE_PGM_RSRC2:TGID_Y_EN: 0
; COMPUTE_PGM_RSRC2:TGID_Z_EN: 0
; COMPUTE_PGM_RSRC2:TIDIG_COMP_CNT: 0
	.section	.text._ZN7rocprim17ROCPRIM_400000_NS6detail17trampoline_kernelINS0_14default_configENS1_21merge_config_selectorIiNS0_10empty_typeEEEZNS1_10merge_implIS3_N6thrust23THRUST_200600_302600_NS6detail15normal_iteratorINS9_10device_ptrIKiEEEESF_NSB_INSC_IiEEEEPS5_SI_SI_NS9_4lessIiEEEE10hipError_tPvRmT0_T1_T2_T3_T4_T5_mmT6_P12ihipStream_tbEUlT_E_NS1_11comp_targetILNS1_3genE5ELNS1_11target_archE942ELNS1_3gpuE9ELNS1_3repE0EEENS1_30default_config_static_selectorELNS0_4arch9wavefront6targetE1EEEvSP_,"axG",@progbits,_ZN7rocprim17ROCPRIM_400000_NS6detail17trampoline_kernelINS0_14default_configENS1_21merge_config_selectorIiNS0_10empty_typeEEEZNS1_10merge_implIS3_N6thrust23THRUST_200600_302600_NS6detail15normal_iteratorINS9_10device_ptrIKiEEEESF_NSB_INSC_IiEEEEPS5_SI_SI_NS9_4lessIiEEEE10hipError_tPvRmT0_T1_T2_T3_T4_T5_mmT6_P12ihipStream_tbEUlT_E_NS1_11comp_targetILNS1_3genE5ELNS1_11target_archE942ELNS1_3gpuE9ELNS1_3repE0EEENS1_30default_config_static_selectorELNS0_4arch9wavefront6targetE1EEEvSP_,comdat
	.protected	_ZN7rocprim17ROCPRIM_400000_NS6detail17trampoline_kernelINS0_14default_configENS1_21merge_config_selectorIiNS0_10empty_typeEEEZNS1_10merge_implIS3_N6thrust23THRUST_200600_302600_NS6detail15normal_iteratorINS9_10device_ptrIKiEEEESF_NSB_INSC_IiEEEEPS5_SI_SI_NS9_4lessIiEEEE10hipError_tPvRmT0_T1_T2_T3_T4_T5_mmT6_P12ihipStream_tbEUlT_E_NS1_11comp_targetILNS1_3genE5ELNS1_11target_archE942ELNS1_3gpuE9ELNS1_3repE0EEENS1_30default_config_static_selectorELNS0_4arch9wavefront6targetE1EEEvSP_ ; -- Begin function _ZN7rocprim17ROCPRIM_400000_NS6detail17trampoline_kernelINS0_14default_configENS1_21merge_config_selectorIiNS0_10empty_typeEEEZNS1_10merge_implIS3_N6thrust23THRUST_200600_302600_NS6detail15normal_iteratorINS9_10device_ptrIKiEEEESF_NSB_INSC_IiEEEEPS5_SI_SI_NS9_4lessIiEEEE10hipError_tPvRmT0_T1_T2_T3_T4_T5_mmT6_P12ihipStream_tbEUlT_E_NS1_11comp_targetILNS1_3genE5ELNS1_11target_archE942ELNS1_3gpuE9ELNS1_3repE0EEENS1_30default_config_static_selectorELNS0_4arch9wavefront6targetE1EEEvSP_
	.globl	_ZN7rocprim17ROCPRIM_400000_NS6detail17trampoline_kernelINS0_14default_configENS1_21merge_config_selectorIiNS0_10empty_typeEEEZNS1_10merge_implIS3_N6thrust23THRUST_200600_302600_NS6detail15normal_iteratorINS9_10device_ptrIKiEEEESF_NSB_INSC_IiEEEEPS5_SI_SI_NS9_4lessIiEEEE10hipError_tPvRmT0_T1_T2_T3_T4_T5_mmT6_P12ihipStream_tbEUlT_E_NS1_11comp_targetILNS1_3genE5ELNS1_11target_archE942ELNS1_3gpuE9ELNS1_3repE0EEENS1_30default_config_static_selectorELNS0_4arch9wavefront6targetE1EEEvSP_
	.p2align	8
	.type	_ZN7rocprim17ROCPRIM_400000_NS6detail17trampoline_kernelINS0_14default_configENS1_21merge_config_selectorIiNS0_10empty_typeEEEZNS1_10merge_implIS3_N6thrust23THRUST_200600_302600_NS6detail15normal_iteratorINS9_10device_ptrIKiEEEESF_NSB_INSC_IiEEEEPS5_SI_SI_NS9_4lessIiEEEE10hipError_tPvRmT0_T1_T2_T3_T4_T5_mmT6_P12ihipStream_tbEUlT_E_NS1_11comp_targetILNS1_3genE5ELNS1_11target_archE942ELNS1_3gpuE9ELNS1_3repE0EEENS1_30default_config_static_selectorELNS0_4arch9wavefront6targetE1EEEvSP_,@function
_ZN7rocprim17ROCPRIM_400000_NS6detail17trampoline_kernelINS0_14default_configENS1_21merge_config_selectorIiNS0_10empty_typeEEEZNS1_10merge_implIS3_N6thrust23THRUST_200600_302600_NS6detail15normal_iteratorINS9_10device_ptrIKiEEEESF_NSB_INSC_IiEEEEPS5_SI_SI_NS9_4lessIiEEEE10hipError_tPvRmT0_T1_T2_T3_T4_T5_mmT6_P12ihipStream_tbEUlT_E_NS1_11comp_targetILNS1_3genE5ELNS1_11target_archE942ELNS1_3gpuE9ELNS1_3repE0EEENS1_30default_config_static_selectorELNS0_4arch9wavefront6targetE1EEEvSP_: ; @_ZN7rocprim17ROCPRIM_400000_NS6detail17trampoline_kernelINS0_14default_configENS1_21merge_config_selectorIiNS0_10empty_typeEEEZNS1_10merge_implIS3_N6thrust23THRUST_200600_302600_NS6detail15normal_iteratorINS9_10device_ptrIKiEEEESF_NSB_INSC_IiEEEEPS5_SI_SI_NS9_4lessIiEEEE10hipError_tPvRmT0_T1_T2_T3_T4_T5_mmT6_P12ihipStream_tbEUlT_E_NS1_11comp_targetILNS1_3genE5ELNS1_11target_archE942ELNS1_3gpuE9ELNS1_3repE0EEENS1_30default_config_static_selectorELNS0_4arch9wavefront6targetE1EEEvSP_
; %bb.0:
	.section	.rodata,"a",@progbits
	.p2align	6, 0x0
	.amdhsa_kernel _ZN7rocprim17ROCPRIM_400000_NS6detail17trampoline_kernelINS0_14default_configENS1_21merge_config_selectorIiNS0_10empty_typeEEEZNS1_10merge_implIS3_N6thrust23THRUST_200600_302600_NS6detail15normal_iteratorINS9_10device_ptrIKiEEEESF_NSB_INSC_IiEEEEPS5_SI_SI_NS9_4lessIiEEEE10hipError_tPvRmT0_T1_T2_T3_T4_T5_mmT6_P12ihipStream_tbEUlT_E_NS1_11comp_targetILNS1_3genE5ELNS1_11target_archE942ELNS1_3gpuE9ELNS1_3repE0EEENS1_30default_config_static_selectorELNS0_4arch9wavefront6targetE1EEEvSP_
		.amdhsa_group_segment_fixed_size 0
		.amdhsa_private_segment_fixed_size 0
		.amdhsa_kernarg_size 48
		.amdhsa_user_sgpr_count 6
		.amdhsa_user_sgpr_private_segment_buffer 1
		.amdhsa_user_sgpr_dispatch_ptr 0
		.amdhsa_user_sgpr_queue_ptr 0
		.amdhsa_user_sgpr_kernarg_segment_ptr 1
		.amdhsa_user_sgpr_dispatch_id 0
		.amdhsa_user_sgpr_flat_scratch_init 0
		.amdhsa_user_sgpr_private_segment_size 0
		.amdhsa_uses_dynamic_stack 0
		.amdhsa_system_sgpr_private_segment_wavefront_offset 0
		.amdhsa_system_sgpr_workgroup_id_x 1
		.amdhsa_system_sgpr_workgroup_id_y 0
		.amdhsa_system_sgpr_workgroup_id_z 0
		.amdhsa_system_sgpr_workgroup_info 0
		.amdhsa_system_vgpr_workitem_id 0
		.amdhsa_next_free_vgpr 1
		.amdhsa_next_free_sgpr 0
		.amdhsa_reserve_vcc 0
		.amdhsa_reserve_flat_scratch 0
		.amdhsa_float_round_mode_32 0
		.amdhsa_float_round_mode_16_64 0
		.amdhsa_float_denorm_mode_32 3
		.amdhsa_float_denorm_mode_16_64 3
		.amdhsa_dx10_clamp 1
		.amdhsa_ieee_mode 1
		.amdhsa_fp16_overflow 0
		.amdhsa_exception_fp_ieee_invalid_op 0
		.amdhsa_exception_fp_denorm_src 0
		.amdhsa_exception_fp_ieee_div_zero 0
		.amdhsa_exception_fp_ieee_overflow 0
		.amdhsa_exception_fp_ieee_underflow 0
		.amdhsa_exception_fp_ieee_inexact 0
		.amdhsa_exception_int_div_zero 0
	.end_amdhsa_kernel
	.section	.text._ZN7rocprim17ROCPRIM_400000_NS6detail17trampoline_kernelINS0_14default_configENS1_21merge_config_selectorIiNS0_10empty_typeEEEZNS1_10merge_implIS3_N6thrust23THRUST_200600_302600_NS6detail15normal_iteratorINS9_10device_ptrIKiEEEESF_NSB_INSC_IiEEEEPS5_SI_SI_NS9_4lessIiEEEE10hipError_tPvRmT0_T1_T2_T3_T4_T5_mmT6_P12ihipStream_tbEUlT_E_NS1_11comp_targetILNS1_3genE5ELNS1_11target_archE942ELNS1_3gpuE9ELNS1_3repE0EEENS1_30default_config_static_selectorELNS0_4arch9wavefront6targetE1EEEvSP_,"axG",@progbits,_ZN7rocprim17ROCPRIM_400000_NS6detail17trampoline_kernelINS0_14default_configENS1_21merge_config_selectorIiNS0_10empty_typeEEEZNS1_10merge_implIS3_N6thrust23THRUST_200600_302600_NS6detail15normal_iteratorINS9_10device_ptrIKiEEEESF_NSB_INSC_IiEEEEPS5_SI_SI_NS9_4lessIiEEEE10hipError_tPvRmT0_T1_T2_T3_T4_T5_mmT6_P12ihipStream_tbEUlT_E_NS1_11comp_targetILNS1_3genE5ELNS1_11target_archE942ELNS1_3gpuE9ELNS1_3repE0EEENS1_30default_config_static_selectorELNS0_4arch9wavefront6targetE1EEEvSP_,comdat
.Lfunc_end2:
	.size	_ZN7rocprim17ROCPRIM_400000_NS6detail17trampoline_kernelINS0_14default_configENS1_21merge_config_selectorIiNS0_10empty_typeEEEZNS1_10merge_implIS3_N6thrust23THRUST_200600_302600_NS6detail15normal_iteratorINS9_10device_ptrIKiEEEESF_NSB_INSC_IiEEEEPS5_SI_SI_NS9_4lessIiEEEE10hipError_tPvRmT0_T1_T2_T3_T4_T5_mmT6_P12ihipStream_tbEUlT_E_NS1_11comp_targetILNS1_3genE5ELNS1_11target_archE942ELNS1_3gpuE9ELNS1_3repE0EEENS1_30default_config_static_selectorELNS0_4arch9wavefront6targetE1EEEvSP_, .Lfunc_end2-_ZN7rocprim17ROCPRIM_400000_NS6detail17trampoline_kernelINS0_14default_configENS1_21merge_config_selectorIiNS0_10empty_typeEEEZNS1_10merge_implIS3_N6thrust23THRUST_200600_302600_NS6detail15normal_iteratorINS9_10device_ptrIKiEEEESF_NSB_INSC_IiEEEEPS5_SI_SI_NS9_4lessIiEEEE10hipError_tPvRmT0_T1_T2_T3_T4_T5_mmT6_P12ihipStream_tbEUlT_E_NS1_11comp_targetILNS1_3genE5ELNS1_11target_archE942ELNS1_3gpuE9ELNS1_3repE0EEENS1_30default_config_static_selectorELNS0_4arch9wavefront6targetE1EEEvSP_
                                        ; -- End function
	.set _ZN7rocprim17ROCPRIM_400000_NS6detail17trampoline_kernelINS0_14default_configENS1_21merge_config_selectorIiNS0_10empty_typeEEEZNS1_10merge_implIS3_N6thrust23THRUST_200600_302600_NS6detail15normal_iteratorINS9_10device_ptrIKiEEEESF_NSB_INSC_IiEEEEPS5_SI_SI_NS9_4lessIiEEEE10hipError_tPvRmT0_T1_T2_T3_T4_T5_mmT6_P12ihipStream_tbEUlT_E_NS1_11comp_targetILNS1_3genE5ELNS1_11target_archE942ELNS1_3gpuE9ELNS1_3repE0EEENS1_30default_config_static_selectorELNS0_4arch9wavefront6targetE1EEEvSP_.num_vgpr, 0
	.set _ZN7rocprim17ROCPRIM_400000_NS6detail17trampoline_kernelINS0_14default_configENS1_21merge_config_selectorIiNS0_10empty_typeEEEZNS1_10merge_implIS3_N6thrust23THRUST_200600_302600_NS6detail15normal_iteratorINS9_10device_ptrIKiEEEESF_NSB_INSC_IiEEEEPS5_SI_SI_NS9_4lessIiEEEE10hipError_tPvRmT0_T1_T2_T3_T4_T5_mmT6_P12ihipStream_tbEUlT_E_NS1_11comp_targetILNS1_3genE5ELNS1_11target_archE942ELNS1_3gpuE9ELNS1_3repE0EEENS1_30default_config_static_selectorELNS0_4arch9wavefront6targetE1EEEvSP_.num_agpr, 0
	.set _ZN7rocprim17ROCPRIM_400000_NS6detail17trampoline_kernelINS0_14default_configENS1_21merge_config_selectorIiNS0_10empty_typeEEEZNS1_10merge_implIS3_N6thrust23THRUST_200600_302600_NS6detail15normal_iteratorINS9_10device_ptrIKiEEEESF_NSB_INSC_IiEEEEPS5_SI_SI_NS9_4lessIiEEEE10hipError_tPvRmT0_T1_T2_T3_T4_T5_mmT6_P12ihipStream_tbEUlT_E_NS1_11comp_targetILNS1_3genE5ELNS1_11target_archE942ELNS1_3gpuE9ELNS1_3repE0EEENS1_30default_config_static_selectorELNS0_4arch9wavefront6targetE1EEEvSP_.numbered_sgpr, 0
	.set _ZN7rocprim17ROCPRIM_400000_NS6detail17trampoline_kernelINS0_14default_configENS1_21merge_config_selectorIiNS0_10empty_typeEEEZNS1_10merge_implIS3_N6thrust23THRUST_200600_302600_NS6detail15normal_iteratorINS9_10device_ptrIKiEEEESF_NSB_INSC_IiEEEEPS5_SI_SI_NS9_4lessIiEEEE10hipError_tPvRmT0_T1_T2_T3_T4_T5_mmT6_P12ihipStream_tbEUlT_E_NS1_11comp_targetILNS1_3genE5ELNS1_11target_archE942ELNS1_3gpuE9ELNS1_3repE0EEENS1_30default_config_static_selectorELNS0_4arch9wavefront6targetE1EEEvSP_.num_named_barrier, 0
	.set _ZN7rocprim17ROCPRIM_400000_NS6detail17trampoline_kernelINS0_14default_configENS1_21merge_config_selectorIiNS0_10empty_typeEEEZNS1_10merge_implIS3_N6thrust23THRUST_200600_302600_NS6detail15normal_iteratorINS9_10device_ptrIKiEEEESF_NSB_INSC_IiEEEEPS5_SI_SI_NS9_4lessIiEEEE10hipError_tPvRmT0_T1_T2_T3_T4_T5_mmT6_P12ihipStream_tbEUlT_E_NS1_11comp_targetILNS1_3genE5ELNS1_11target_archE942ELNS1_3gpuE9ELNS1_3repE0EEENS1_30default_config_static_selectorELNS0_4arch9wavefront6targetE1EEEvSP_.private_seg_size, 0
	.set _ZN7rocprim17ROCPRIM_400000_NS6detail17trampoline_kernelINS0_14default_configENS1_21merge_config_selectorIiNS0_10empty_typeEEEZNS1_10merge_implIS3_N6thrust23THRUST_200600_302600_NS6detail15normal_iteratorINS9_10device_ptrIKiEEEESF_NSB_INSC_IiEEEEPS5_SI_SI_NS9_4lessIiEEEE10hipError_tPvRmT0_T1_T2_T3_T4_T5_mmT6_P12ihipStream_tbEUlT_E_NS1_11comp_targetILNS1_3genE5ELNS1_11target_archE942ELNS1_3gpuE9ELNS1_3repE0EEENS1_30default_config_static_selectorELNS0_4arch9wavefront6targetE1EEEvSP_.uses_vcc, 0
	.set _ZN7rocprim17ROCPRIM_400000_NS6detail17trampoline_kernelINS0_14default_configENS1_21merge_config_selectorIiNS0_10empty_typeEEEZNS1_10merge_implIS3_N6thrust23THRUST_200600_302600_NS6detail15normal_iteratorINS9_10device_ptrIKiEEEESF_NSB_INSC_IiEEEEPS5_SI_SI_NS9_4lessIiEEEE10hipError_tPvRmT0_T1_T2_T3_T4_T5_mmT6_P12ihipStream_tbEUlT_E_NS1_11comp_targetILNS1_3genE5ELNS1_11target_archE942ELNS1_3gpuE9ELNS1_3repE0EEENS1_30default_config_static_selectorELNS0_4arch9wavefront6targetE1EEEvSP_.uses_flat_scratch, 0
	.set _ZN7rocprim17ROCPRIM_400000_NS6detail17trampoline_kernelINS0_14default_configENS1_21merge_config_selectorIiNS0_10empty_typeEEEZNS1_10merge_implIS3_N6thrust23THRUST_200600_302600_NS6detail15normal_iteratorINS9_10device_ptrIKiEEEESF_NSB_INSC_IiEEEEPS5_SI_SI_NS9_4lessIiEEEE10hipError_tPvRmT0_T1_T2_T3_T4_T5_mmT6_P12ihipStream_tbEUlT_E_NS1_11comp_targetILNS1_3genE5ELNS1_11target_archE942ELNS1_3gpuE9ELNS1_3repE0EEENS1_30default_config_static_selectorELNS0_4arch9wavefront6targetE1EEEvSP_.has_dyn_sized_stack, 0
	.set _ZN7rocprim17ROCPRIM_400000_NS6detail17trampoline_kernelINS0_14default_configENS1_21merge_config_selectorIiNS0_10empty_typeEEEZNS1_10merge_implIS3_N6thrust23THRUST_200600_302600_NS6detail15normal_iteratorINS9_10device_ptrIKiEEEESF_NSB_INSC_IiEEEEPS5_SI_SI_NS9_4lessIiEEEE10hipError_tPvRmT0_T1_T2_T3_T4_T5_mmT6_P12ihipStream_tbEUlT_E_NS1_11comp_targetILNS1_3genE5ELNS1_11target_archE942ELNS1_3gpuE9ELNS1_3repE0EEENS1_30default_config_static_selectorELNS0_4arch9wavefront6targetE1EEEvSP_.has_recursion, 0
	.set _ZN7rocprim17ROCPRIM_400000_NS6detail17trampoline_kernelINS0_14default_configENS1_21merge_config_selectorIiNS0_10empty_typeEEEZNS1_10merge_implIS3_N6thrust23THRUST_200600_302600_NS6detail15normal_iteratorINS9_10device_ptrIKiEEEESF_NSB_INSC_IiEEEEPS5_SI_SI_NS9_4lessIiEEEE10hipError_tPvRmT0_T1_T2_T3_T4_T5_mmT6_P12ihipStream_tbEUlT_E_NS1_11comp_targetILNS1_3genE5ELNS1_11target_archE942ELNS1_3gpuE9ELNS1_3repE0EEENS1_30default_config_static_selectorELNS0_4arch9wavefront6targetE1EEEvSP_.has_indirect_call, 0
	.section	.AMDGPU.csdata,"",@progbits
; Kernel info:
; codeLenInByte = 0
; TotalNumSgprs: 4
; NumVgprs: 0
; ScratchSize: 0
; MemoryBound: 0
; FloatMode: 240
; IeeeMode: 1
; LDSByteSize: 0 bytes/workgroup (compile time only)
; SGPRBlocks: 0
; VGPRBlocks: 0
; NumSGPRsForWavesPerEU: 4
; NumVGPRsForWavesPerEU: 1
; Occupancy: 10
; WaveLimiterHint : 0
; COMPUTE_PGM_RSRC2:SCRATCH_EN: 0
; COMPUTE_PGM_RSRC2:USER_SGPR: 6
; COMPUTE_PGM_RSRC2:TRAP_HANDLER: 0
; COMPUTE_PGM_RSRC2:TGID_X_EN: 1
; COMPUTE_PGM_RSRC2:TGID_Y_EN: 0
; COMPUTE_PGM_RSRC2:TGID_Z_EN: 0
; COMPUTE_PGM_RSRC2:TIDIG_COMP_CNT: 0
	.section	.text._ZN7rocprim17ROCPRIM_400000_NS6detail17trampoline_kernelINS0_14default_configENS1_21merge_config_selectorIiNS0_10empty_typeEEEZNS1_10merge_implIS3_N6thrust23THRUST_200600_302600_NS6detail15normal_iteratorINS9_10device_ptrIKiEEEESF_NSB_INSC_IiEEEEPS5_SI_SI_NS9_4lessIiEEEE10hipError_tPvRmT0_T1_T2_T3_T4_T5_mmT6_P12ihipStream_tbEUlT_E_NS1_11comp_targetILNS1_3genE4ELNS1_11target_archE910ELNS1_3gpuE8ELNS1_3repE0EEENS1_30default_config_static_selectorELNS0_4arch9wavefront6targetE1EEEvSP_,"axG",@progbits,_ZN7rocprim17ROCPRIM_400000_NS6detail17trampoline_kernelINS0_14default_configENS1_21merge_config_selectorIiNS0_10empty_typeEEEZNS1_10merge_implIS3_N6thrust23THRUST_200600_302600_NS6detail15normal_iteratorINS9_10device_ptrIKiEEEESF_NSB_INSC_IiEEEEPS5_SI_SI_NS9_4lessIiEEEE10hipError_tPvRmT0_T1_T2_T3_T4_T5_mmT6_P12ihipStream_tbEUlT_E_NS1_11comp_targetILNS1_3genE4ELNS1_11target_archE910ELNS1_3gpuE8ELNS1_3repE0EEENS1_30default_config_static_selectorELNS0_4arch9wavefront6targetE1EEEvSP_,comdat
	.protected	_ZN7rocprim17ROCPRIM_400000_NS6detail17trampoline_kernelINS0_14default_configENS1_21merge_config_selectorIiNS0_10empty_typeEEEZNS1_10merge_implIS3_N6thrust23THRUST_200600_302600_NS6detail15normal_iteratorINS9_10device_ptrIKiEEEESF_NSB_INSC_IiEEEEPS5_SI_SI_NS9_4lessIiEEEE10hipError_tPvRmT0_T1_T2_T3_T4_T5_mmT6_P12ihipStream_tbEUlT_E_NS1_11comp_targetILNS1_3genE4ELNS1_11target_archE910ELNS1_3gpuE8ELNS1_3repE0EEENS1_30default_config_static_selectorELNS0_4arch9wavefront6targetE1EEEvSP_ ; -- Begin function _ZN7rocprim17ROCPRIM_400000_NS6detail17trampoline_kernelINS0_14default_configENS1_21merge_config_selectorIiNS0_10empty_typeEEEZNS1_10merge_implIS3_N6thrust23THRUST_200600_302600_NS6detail15normal_iteratorINS9_10device_ptrIKiEEEESF_NSB_INSC_IiEEEEPS5_SI_SI_NS9_4lessIiEEEE10hipError_tPvRmT0_T1_T2_T3_T4_T5_mmT6_P12ihipStream_tbEUlT_E_NS1_11comp_targetILNS1_3genE4ELNS1_11target_archE910ELNS1_3gpuE8ELNS1_3repE0EEENS1_30default_config_static_selectorELNS0_4arch9wavefront6targetE1EEEvSP_
	.globl	_ZN7rocprim17ROCPRIM_400000_NS6detail17trampoline_kernelINS0_14default_configENS1_21merge_config_selectorIiNS0_10empty_typeEEEZNS1_10merge_implIS3_N6thrust23THRUST_200600_302600_NS6detail15normal_iteratorINS9_10device_ptrIKiEEEESF_NSB_INSC_IiEEEEPS5_SI_SI_NS9_4lessIiEEEE10hipError_tPvRmT0_T1_T2_T3_T4_T5_mmT6_P12ihipStream_tbEUlT_E_NS1_11comp_targetILNS1_3genE4ELNS1_11target_archE910ELNS1_3gpuE8ELNS1_3repE0EEENS1_30default_config_static_selectorELNS0_4arch9wavefront6targetE1EEEvSP_
	.p2align	8
	.type	_ZN7rocprim17ROCPRIM_400000_NS6detail17trampoline_kernelINS0_14default_configENS1_21merge_config_selectorIiNS0_10empty_typeEEEZNS1_10merge_implIS3_N6thrust23THRUST_200600_302600_NS6detail15normal_iteratorINS9_10device_ptrIKiEEEESF_NSB_INSC_IiEEEEPS5_SI_SI_NS9_4lessIiEEEE10hipError_tPvRmT0_T1_T2_T3_T4_T5_mmT6_P12ihipStream_tbEUlT_E_NS1_11comp_targetILNS1_3genE4ELNS1_11target_archE910ELNS1_3gpuE8ELNS1_3repE0EEENS1_30default_config_static_selectorELNS0_4arch9wavefront6targetE1EEEvSP_,@function
_ZN7rocprim17ROCPRIM_400000_NS6detail17trampoline_kernelINS0_14default_configENS1_21merge_config_selectorIiNS0_10empty_typeEEEZNS1_10merge_implIS3_N6thrust23THRUST_200600_302600_NS6detail15normal_iteratorINS9_10device_ptrIKiEEEESF_NSB_INSC_IiEEEEPS5_SI_SI_NS9_4lessIiEEEE10hipError_tPvRmT0_T1_T2_T3_T4_T5_mmT6_P12ihipStream_tbEUlT_E_NS1_11comp_targetILNS1_3genE4ELNS1_11target_archE910ELNS1_3gpuE8ELNS1_3repE0EEENS1_30default_config_static_selectorELNS0_4arch9wavefront6targetE1EEEvSP_: ; @_ZN7rocprim17ROCPRIM_400000_NS6detail17trampoline_kernelINS0_14default_configENS1_21merge_config_selectorIiNS0_10empty_typeEEEZNS1_10merge_implIS3_N6thrust23THRUST_200600_302600_NS6detail15normal_iteratorINS9_10device_ptrIKiEEEESF_NSB_INSC_IiEEEEPS5_SI_SI_NS9_4lessIiEEEE10hipError_tPvRmT0_T1_T2_T3_T4_T5_mmT6_P12ihipStream_tbEUlT_E_NS1_11comp_targetILNS1_3genE4ELNS1_11target_archE910ELNS1_3gpuE8ELNS1_3repE0EEENS1_30default_config_static_selectorELNS0_4arch9wavefront6targetE1EEEvSP_
; %bb.0:
	.section	.rodata,"a",@progbits
	.p2align	6, 0x0
	.amdhsa_kernel _ZN7rocprim17ROCPRIM_400000_NS6detail17trampoline_kernelINS0_14default_configENS1_21merge_config_selectorIiNS0_10empty_typeEEEZNS1_10merge_implIS3_N6thrust23THRUST_200600_302600_NS6detail15normal_iteratorINS9_10device_ptrIKiEEEESF_NSB_INSC_IiEEEEPS5_SI_SI_NS9_4lessIiEEEE10hipError_tPvRmT0_T1_T2_T3_T4_T5_mmT6_P12ihipStream_tbEUlT_E_NS1_11comp_targetILNS1_3genE4ELNS1_11target_archE910ELNS1_3gpuE8ELNS1_3repE0EEENS1_30default_config_static_selectorELNS0_4arch9wavefront6targetE1EEEvSP_
		.amdhsa_group_segment_fixed_size 0
		.amdhsa_private_segment_fixed_size 0
		.amdhsa_kernarg_size 48
		.amdhsa_user_sgpr_count 6
		.amdhsa_user_sgpr_private_segment_buffer 1
		.amdhsa_user_sgpr_dispatch_ptr 0
		.amdhsa_user_sgpr_queue_ptr 0
		.amdhsa_user_sgpr_kernarg_segment_ptr 1
		.amdhsa_user_sgpr_dispatch_id 0
		.amdhsa_user_sgpr_flat_scratch_init 0
		.amdhsa_user_sgpr_private_segment_size 0
		.amdhsa_uses_dynamic_stack 0
		.amdhsa_system_sgpr_private_segment_wavefront_offset 0
		.amdhsa_system_sgpr_workgroup_id_x 1
		.amdhsa_system_sgpr_workgroup_id_y 0
		.amdhsa_system_sgpr_workgroup_id_z 0
		.amdhsa_system_sgpr_workgroup_info 0
		.amdhsa_system_vgpr_workitem_id 0
		.amdhsa_next_free_vgpr 1
		.amdhsa_next_free_sgpr 0
		.amdhsa_reserve_vcc 0
		.amdhsa_reserve_flat_scratch 0
		.amdhsa_float_round_mode_32 0
		.amdhsa_float_round_mode_16_64 0
		.amdhsa_float_denorm_mode_32 3
		.amdhsa_float_denorm_mode_16_64 3
		.amdhsa_dx10_clamp 1
		.amdhsa_ieee_mode 1
		.amdhsa_fp16_overflow 0
		.amdhsa_exception_fp_ieee_invalid_op 0
		.amdhsa_exception_fp_denorm_src 0
		.amdhsa_exception_fp_ieee_div_zero 0
		.amdhsa_exception_fp_ieee_overflow 0
		.amdhsa_exception_fp_ieee_underflow 0
		.amdhsa_exception_fp_ieee_inexact 0
		.amdhsa_exception_int_div_zero 0
	.end_amdhsa_kernel
	.section	.text._ZN7rocprim17ROCPRIM_400000_NS6detail17trampoline_kernelINS0_14default_configENS1_21merge_config_selectorIiNS0_10empty_typeEEEZNS1_10merge_implIS3_N6thrust23THRUST_200600_302600_NS6detail15normal_iteratorINS9_10device_ptrIKiEEEESF_NSB_INSC_IiEEEEPS5_SI_SI_NS9_4lessIiEEEE10hipError_tPvRmT0_T1_T2_T3_T4_T5_mmT6_P12ihipStream_tbEUlT_E_NS1_11comp_targetILNS1_3genE4ELNS1_11target_archE910ELNS1_3gpuE8ELNS1_3repE0EEENS1_30default_config_static_selectorELNS0_4arch9wavefront6targetE1EEEvSP_,"axG",@progbits,_ZN7rocprim17ROCPRIM_400000_NS6detail17trampoline_kernelINS0_14default_configENS1_21merge_config_selectorIiNS0_10empty_typeEEEZNS1_10merge_implIS3_N6thrust23THRUST_200600_302600_NS6detail15normal_iteratorINS9_10device_ptrIKiEEEESF_NSB_INSC_IiEEEEPS5_SI_SI_NS9_4lessIiEEEE10hipError_tPvRmT0_T1_T2_T3_T4_T5_mmT6_P12ihipStream_tbEUlT_E_NS1_11comp_targetILNS1_3genE4ELNS1_11target_archE910ELNS1_3gpuE8ELNS1_3repE0EEENS1_30default_config_static_selectorELNS0_4arch9wavefront6targetE1EEEvSP_,comdat
.Lfunc_end3:
	.size	_ZN7rocprim17ROCPRIM_400000_NS6detail17trampoline_kernelINS0_14default_configENS1_21merge_config_selectorIiNS0_10empty_typeEEEZNS1_10merge_implIS3_N6thrust23THRUST_200600_302600_NS6detail15normal_iteratorINS9_10device_ptrIKiEEEESF_NSB_INSC_IiEEEEPS5_SI_SI_NS9_4lessIiEEEE10hipError_tPvRmT0_T1_T2_T3_T4_T5_mmT6_P12ihipStream_tbEUlT_E_NS1_11comp_targetILNS1_3genE4ELNS1_11target_archE910ELNS1_3gpuE8ELNS1_3repE0EEENS1_30default_config_static_selectorELNS0_4arch9wavefront6targetE1EEEvSP_, .Lfunc_end3-_ZN7rocprim17ROCPRIM_400000_NS6detail17trampoline_kernelINS0_14default_configENS1_21merge_config_selectorIiNS0_10empty_typeEEEZNS1_10merge_implIS3_N6thrust23THRUST_200600_302600_NS6detail15normal_iteratorINS9_10device_ptrIKiEEEESF_NSB_INSC_IiEEEEPS5_SI_SI_NS9_4lessIiEEEE10hipError_tPvRmT0_T1_T2_T3_T4_T5_mmT6_P12ihipStream_tbEUlT_E_NS1_11comp_targetILNS1_3genE4ELNS1_11target_archE910ELNS1_3gpuE8ELNS1_3repE0EEENS1_30default_config_static_selectorELNS0_4arch9wavefront6targetE1EEEvSP_
                                        ; -- End function
	.set _ZN7rocprim17ROCPRIM_400000_NS6detail17trampoline_kernelINS0_14default_configENS1_21merge_config_selectorIiNS0_10empty_typeEEEZNS1_10merge_implIS3_N6thrust23THRUST_200600_302600_NS6detail15normal_iteratorINS9_10device_ptrIKiEEEESF_NSB_INSC_IiEEEEPS5_SI_SI_NS9_4lessIiEEEE10hipError_tPvRmT0_T1_T2_T3_T4_T5_mmT6_P12ihipStream_tbEUlT_E_NS1_11comp_targetILNS1_3genE4ELNS1_11target_archE910ELNS1_3gpuE8ELNS1_3repE0EEENS1_30default_config_static_selectorELNS0_4arch9wavefront6targetE1EEEvSP_.num_vgpr, 0
	.set _ZN7rocprim17ROCPRIM_400000_NS6detail17trampoline_kernelINS0_14default_configENS1_21merge_config_selectorIiNS0_10empty_typeEEEZNS1_10merge_implIS3_N6thrust23THRUST_200600_302600_NS6detail15normal_iteratorINS9_10device_ptrIKiEEEESF_NSB_INSC_IiEEEEPS5_SI_SI_NS9_4lessIiEEEE10hipError_tPvRmT0_T1_T2_T3_T4_T5_mmT6_P12ihipStream_tbEUlT_E_NS1_11comp_targetILNS1_3genE4ELNS1_11target_archE910ELNS1_3gpuE8ELNS1_3repE0EEENS1_30default_config_static_selectorELNS0_4arch9wavefront6targetE1EEEvSP_.num_agpr, 0
	.set _ZN7rocprim17ROCPRIM_400000_NS6detail17trampoline_kernelINS0_14default_configENS1_21merge_config_selectorIiNS0_10empty_typeEEEZNS1_10merge_implIS3_N6thrust23THRUST_200600_302600_NS6detail15normal_iteratorINS9_10device_ptrIKiEEEESF_NSB_INSC_IiEEEEPS5_SI_SI_NS9_4lessIiEEEE10hipError_tPvRmT0_T1_T2_T3_T4_T5_mmT6_P12ihipStream_tbEUlT_E_NS1_11comp_targetILNS1_3genE4ELNS1_11target_archE910ELNS1_3gpuE8ELNS1_3repE0EEENS1_30default_config_static_selectorELNS0_4arch9wavefront6targetE1EEEvSP_.numbered_sgpr, 0
	.set _ZN7rocprim17ROCPRIM_400000_NS6detail17trampoline_kernelINS0_14default_configENS1_21merge_config_selectorIiNS0_10empty_typeEEEZNS1_10merge_implIS3_N6thrust23THRUST_200600_302600_NS6detail15normal_iteratorINS9_10device_ptrIKiEEEESF_NSB_INSC_IiEEEEPS5_SI_SI_NS9_4lessIiEEEE10hipError_tPvRmT0_T1_T2_T3_T4_T5_mmT6_P12ihipStream_tbEUlT_E_NS1_11comp_targetILNS1_3genE4ELNS1_11target_archE910ELNS1_3gpuE8ELNS1_3repE0EEENS1_30default_config_static_selectorELNS0_4arch9wavefront6targetE1EEEvSP_.num_named_barrier, 0
	.set _ZN7rocprim17ROCPRIM_400000_NS6detail17trampoline_kernelINS0_14default_configENS1_21merge_config_selectorIiNS0_10empty_typeEEEZNS1_10merge_implIS3_N6thrust23THRUST_200600_302600_NS6detail15normal_iteratorINS9_10device_ptrIKiEEEESF_NSB_INSC_IiEEEEPS5_SI_SI_NS9_4lessIiEEEE10hipError_tPvRmT0_T1_T2_T3_T4_T5_mmT6_P12ihipStream_tbEUlT_E_NS1_11comp_targetILNS1_3genE4ELNS1_11target_archE910ELNS1_3gpuE8ELNS1_3repE0EEENS1_30default_config_static_selectorELNS0_4arch9wavefront6targetE1EEEvSP_.private_seg_size, 0
	.set _ZN7rocprim17ROCPRIM_400000_NS6detail17trampoline_kernelINS0_14default_configENS1_21merge_config_selectorIiNS0_10empty_typeEEEZNS1_10merge_implIS3_N6thrust23THRUST_200600_302600_NS6detail15normal_iteratorINS9_10device_ptrIKiEEEESF_NSB_INSC_IiEEEEPS5_SI_SI_NS9_4lessIiEEEE10hipError_tPvRmT0_T1_T2_T3_T4_T5_mmT6_P12ihipStream_tbEUlT_E_NS1_11comp_targetILNS1_3genE4ELNS1_11target_archE910ELNS1_3gpuE8ELNS1_3repE0EEENS1_30default_config_static_selectorELNS0_4arch9wavefront6targetE1EEEvSP_.uses_vcc, 0
	.set _ZN7rocprim17ROCPRIM_400000_NS6detail17trampoline_kernelINS0_14default_configENS1_21merge_config_selectorIiNS0_10empty_typeEEEZNS1_10merge_implIS3_N6thrust23THRUST_200600_302600_NS6detail15normal_iteratorINS9_10device_ptrIKiEEEESF_NSB_INSC_IiEEEEPS5_SI_SI_NS9_4lessIiEEEE10hipError_tPvRmT0_T1_T2_T3_T4_T5_mmT6_P12ihipStream_tbEUlT_E_NS1_11comp_targetILNS1_3genE4ELNS1_11target_archE910ELNS1_3gpuE8ELNS1_3repE0EEENS1_30default_config_static_selectorELNS0_4arch9wavefront6targetE1EEEvSP_.uses_flat_scratch, 0
	.set _ZN7rocprim17ROCPRIM_400000_NS6detail17trampoline_kernelINS0_14default_configENS1_21merge_config_selectorIiNS0_10empty_typeEEEZNS1_10merge_implIS3_N6thrust23THRUST_200600_302600_NS6detail15normal_iteratorINS9_10device_ptrIKiEEEESF_NSB_INSC_IiEEEEPS5_SI_SI_NS9_4lessIiEEEE10hipError_tPvRmT0_T1_T2_T3_T4_T5_mmT6_P12ihipStream_tbEUlT_E_NS1_11comp_targetILNS1_3genE4ELNS1_11target_archE910ELNS1_3gpuE8ELNS1_3repE0EEENS1_30default_config_static_selectorELNS0_4arch9wavefront6targetE1EEEvSP_.has_dyn_sized_stack, 0
	.set _ZN7rocprim17ROCPRIM_400000_NS6detail17trampoline_kernelINS0_14default_configENS1_21merge_config_selectorIiNS0_10empty_typeEEEZNS1_10merge_implIS3_N6thrust23THRUST_200600_302600_NS6detail15normal_iteratorINS9_10device_ptrIKiEEEESF_NSB_INSC_IiEEEEPS5_SI_SI_NS9_4lessIiEEEE10hipError_tPvRmT0_T1_T2_T3_T4_T5_mmT6_P12ihipStream_tbEUlT_E_NS1_11comp_targetILNS1_3genE4ELNS1_11target_archE910ELNS1_3gpuE8ELNS1_3repE0EEENS1_30default_config_static_selectorELNS0_4arch9wavefront6targetE1EEEvSP_.has_recursion, 0
	.set _ZN7rocprim17ROCPRIM_400000_NS6detail17trampoline_kernelINS0_14default_configENS1_21merge_config_selectorIiNS0_10empty_typeEEEZNS1_10merge_implIS3_N6thrust23THRUST_200600_302600_NS6detail15normal_iteratorINS9_10device_ptrIKiEEEESF_NSB_INSC_IiEEEEPS5_SI_SI_NS9_4lessIiEEEE10hipError_tPvRmT0_T1_T2_T3_T4_T5_mmT6_P12ihipStream_tbEUlT_E_NS1_11comp_targetILNS1_3genE4ELNS1_11target_archE910ELNS1_3gpuE8ELNS1_3repE0EEENS1_30default_config_static_selectorELNS0_4arch9wavefront6targetE1EEEvSP_.has_indirect_call, 0
	.section	.AMDGPU.csdata,"",@progbits
; Kernel info:
; codeLenInByte = 0
; TotalNumSgprs: 4
; NumVgprs: 0
; ScratchSize: 0
; MemoryBound: 0
; FloatMode: 240
; IeeeMode: 1
; LDSByteSize: 0 bytes/workgroup (compile time only)
; SGPRBlocks: 0
; VGPRBlocks: 0
; NumSGPRsForWavesPerEU: 4
; NumVGPRsForWavesPerEU: 1
; Occupancy: 10
; WaveLimiterHint : 0
; COMPUTE_PGM_RSRC2:SCRATCH_EN: 0
; COMPUTE_PGM_RSRC2:USER_SGPR: 6
; COMPUTE_PGM_RSRC2:TRAP_HANDLER: 0
; COMPUTE_PGM_RSRC2:TGID_X_EN: 1
; COMPUTE_PGM_RSRC2:TGID_Y_EN: 0
; COMPUTE_PGM_RSRC2:TGID_Z_EN: 0
; COMPUTE_PGM_RSRC2:TIDIG_COMP_CNT: 0
	.section	.text._ZN7rocprim17ROCPRIM_400000_NS6detail17trampoline_kernelINS0_14default_configENS1_21merge_config_selectorIiNS0_10empty_typeEEEZNS1_10merge_implIS3_N6thrust23THRUST_200600_302600_NS6detail15normal_iteratorINS9_10device_ptrIKiEEEESF_NSB_INSC_IiEEEEPS5_SI_SI_NS9_4lessIiEEEE10hipError_tPvRmT0_T1_T2_T3_T4_T5_mmT6_P12ihipStream_tbEUlT_E_NS1_11comp_targetILNS1_3genE3ELNS1_11target_archE908ELNS1_3gpuE7ELNS1_3repE0EEENS1_30default_config_static_selectorELNS0_4arch9wavefront6targetE1EEEvSP_,"axG",@progbits,_ZN7rocprim17ROCPRIM_400000_NS6detail17trampoline_kernelINS0_14default_configENS1_21merge_config_selectorIiNS0_10empty_typeEEEZNS1_10merge_implIS3_N6thrust23THRUST_200600_302600_NS6detail15normal_iteratorINS9_10device_ptrIKiEEEESF_NSB_INSC_IiEEEEPS5_SI_SI_NS9_4lessIiEEEE10hipError_tPvRmT0_T1_T2_T3_T4_T5_mmT6_P12ihipStream_tbEUlT_E_NS1_11comp_targetILNS1_3genE3ELNS1_11target_archE908ELNS1_3gpuE7ELNS1_3repE0EEENS1_30default_config_static_selectorELNS0_4arch9wavefront6targetE1EEEvSP_,comdat
	.protected	_ZN7rocprim17ROCPRIM_400000_NS6detail17trampoline_kernelINS0_14default_configENS1_21merge_config_selectorIiNS0_10empty_typeEEEZNS1_10merge_implIS3_N6thrust23THRUST_200600_302600_NS6detail15normal_iteratorINS9_10device_ptrIKiEEEESF_NSB_INSC_IiEEEEPS5_SI_SI_NS9_4lessIiEEEE10hipError_tPvRmT0_T1_T2_T3_T4_T5_mmT6_P12ihipStream_tbEUlT_E_NS1_11comp_targetILNS1_3genE3ELNS1_11target_archE908ELNS1_3gpuE7ELNS1_3repE0EEENS1_30default_config_static_selectorELNS0_4arch9wavefront6targetE1EEEvSP_ ; -- Begin function _ZN7rocprim17ROCPRIM_400000_NS6detail17trampoline_kernelINS0_14default_configENS1_21merge_config_selectorIiNS0_10empty_typeEEEZNS1_10merge_implIS3_N6thrust23THRUST_200600_302600_NS6detail15normal_iteratorINS9_10device_ptrIKiEEEESF_NSB_INSC_IiEEEEPS5_SI_SI_NS9_4lessIiEEEE10hipError_tPvRmT0_T1_T2_T3_T4_T5_mmT6_P12ihipStream_tbEUlT_E_NS1_11comp_targetILNS1_3genE3ELNS1_11target_archE908ELNS1_3gpuE7ELNS1_3repE0EEENS1_30default_config_static_selectorELNS0_4arch9wavefront6targetE1EEEvSP_
	.globl	_ZN7rocprim17ROCPRIM_400000_NS6detail17trampoline_kernelINS0_14default_configENS1_21merge_config_selectorIiNS0_10empty_typeEEEZNS1_10merge_implIS3_N6thrust23THRUST_200600_302600_NS6detail15normal_iteratorINS9_10device_ptrIKiEEEESF_NSB_INSC_IiEEEEPS5_SI_SI_NS9_4lessIiEEEE10hipError_tPvRmT0_T1_T2_T3_T4_T5_mmT6_P12ihipStream_tbEUlT_E_NS1_11comp_targetILNS1_3genE3ELNS1_11target_archE908ELNS1_3gpuE7ELNS1_3repE0EEENS1_30default_config_static_selectorELNS0_4arch9wavefront6targetE1EEEvSP_
	.p2align	8
	.type	_ZN7rocprim17ROCPRIM_400000_NS6detail17trampoline_kernelINS0_14default_configENS1_21merge_config_selectorIiNS0_10empty_typeEEEZNS1_10merge_implIS3_N6thrust23THRUST_200600_302600_NS6detail15normal_iteratorINS9_10device_ptrIKiEEEESF_NSB_INSC_IiEEEEPS5_SI_SI_NS9_4lessIiEEEE10hipError_tPvRmT0_T1_T2_T3_T4_T5_mmT6_P12ihipStream_tbEUlT_E_NS1_11comp_targetILNS1_3genE3ELNS1_11target_archE908ELNS1_3gpuE7ELNS1_3repE0EEENS1_30default_config_static_selectorELNS0_4arch9wavefront6targetE1EEEvSP_,@function
_ZN7rocprim17ROCPRIM_400000_NS6detail17trampoline_kernelINS0_14default_configENS1_21merge_config_selectorIiNS0_10empty_typeEEEZNS1_10merge_implIS3_N6thrust23THRUST_200600_302600_NS6detail15normal_iteratorINS9_10device_ptrIKiEEEESF_NSB_INSC_IiEEEEPS5_SI_SI_NS9_4lessIiEEEE10hipError_tPvRmT0_T1_T2_T3_T4_T5_mmT6_P12ihipStream_tbEUlT_E_NS1_11comp_targetILNS1_3genE3ELNS1_11target_archE908ELNS1_3gpuE7ELNS1_3repE0EEENS1_30default_config_static_selectorELNS0_4arch9wavefront6targetE1EEEvSP_: ; @_ZN7rocprim17ROCPRIM_400000_NS6detail17trampoline_kernelINS0_14default_configENS1_21merge_config_selectorIiNS0_10empty_typeEEEZNS1_10merge_implIS3_N6thrust23THRUST_200600_302600_NS6detail15normal_iteratorINS9_10device_ptrIKiEEEESF_NSB_INSC_IiEEEEPS5_SI_SI_NS9_4lessIiEEEE10hipError_tPvRmT0_T1_T2_T3_T4_T5_mmT6_P12ihipStream_tbEUlT_E_NS1_11comp_targetILNS1_3genE3ELNS1_11target_archE908ELNS1_3gpuE7ELNS1_3repE0EEENS1_30default_config_static_selectorELNS0_4arch9wavefront6targetE1EEEvSP_
; %bb.0:
	.section	.rodata,"a",@progbits
	.p2align	6, 0x0
	.amdhsa_kernel _ZN7rocprim17ROCPRIM_400000_NS6detail17trampoline_kernelINS0_14default_configENS1_21merge_config_selectorIiNS0_10empty_typeEEEZNS1_10merge_implIS3_N6thrust23THRUST_200600_302600_NS6detail15normal_iteratorINS9_10device_ptrIKiEEEESF_NSB_INSC_IiEEEEPS5_SI_SI_NS9_4lessIiEEEE10hipError_tPvRmT0_T1_T2_T3_T4_T5_mmT6_P12ihipStream_tbEUlT_E_NS1_11comp_targetILNS1_3genE3ELNS1_11target_archE908ELNS1_3gpuE7ELNS1_3repE0EEENS1_30default_config_static_selectorELNS0_4arch9wavefront6targetE1EEEvSP_
		.amdhsa_group_segment_fixed_size 0
		.amdhsa_private_segment_fixed_size 0
		.amdhsa_kernarg_size 48
		.amdhsa_user_sgpr_count 6
		.amdhsa_user_sgpr_private_segment_buffer 1
		.amdhsa_user_sgpr_dispatch_ptr 0
		.amdhsa_user_sgpr_queue_ptr 0
		.amdhsa_user_sgpr_kernarg_segment_ptr 1
		.amdhsa_user_sgpr_dispatch_id 0
		.amdhsa_user_sgpr_flat_scratch_init 0
		.amdhsa_user_sgpr_private_segment_size 0
		.amdhsa_uses_dynamic_stack 0
		.amdhsa_system_sgpr_private_segment_wavefront_offset 0
		.amdhsa_system_sgpr_workgroup_id_x 1
		.amdhsa_system_sgpr_workgroup_id_y 0
		.amdhsa_system_sgpr_workgroup_id_z 0
		.amdhsa_system_sgpr_workgroup_info 0
		.amdhsa_system_vgpr_workitem_id 0
		.amdhsa_next_free_vgpr 1
		.amdhsa_next_free_sgpr 0
		.amdhsa_reserve_vcc 0
		.amdhsa_reserve_flat_scratch 0
		.amdhsa_float_round_mode_32 0
		.amdhsa_float_round_mode_16_64 0
		.amdhsa_float_denorm_mode_32 3
		.amdhsa_float_denorm_mode_16_64 3
		.amdhsa_dx10_clamp 1
		.amdhsa_ieee_mode 1
		.amdhsa_fp16_overflow 0
		.amdhsa_exception_fp_ieee_invalid_op 0
		.amdhsa_exception_fp_denorm_src 0
		.amdhsa_exception_fp_ieee_div_zero 0
		.amdhsa_exception_fp_ieee_overflow 0
		.amdhsa_exception_fp_ieee_underflow 0
		.amdhsa_exception_fp_ieee_inexact 0
		.amdhsa_exception_int_div_zero 0
	.end_amdhsa_kernel
	.section	.text._ZN7rocprim17ROCPRIM_400000_NS6detail17trampoline_kernelINS0_14default_configENS1_21merge_config_selectorIiNS0_10empty_typeEEEZNS1_10merge_implIS3_N6thrust23THRUST_200600_302600_NS6detail15normal_iteratorINS9_10device_ptrIKiEEEESF_NSB_INSC_IiEEEEPS5_SI_SI_NS9_4lessIiEEEE10hipError_tPvRmT0_T1_T2_T3_T4_T5_mmT6_P12ihipStream_tbEUlT_E_NS1_11comp_targetILNS1_3genE3ELNS1_11target_archE908ELNS1_3gpuE7ELNS1_3repE0EEENS1_30default_config_static_selectorELNS0_4arch9wavefront6targetE1EEEvSP_,"axG",@progbits,_ZN7rocprim17ROCPRIM_400000_NS6detail17trampoline_kernelINS0_14default_configENS1_21merge_config_selectorIiNS0_10empty_typeEEEZNS1_10merge_implIS3_N6thrust23THRUST_200600_302600_NS6detail15normal_iteratorINS9_10device_ptrIKiEEEESF_NSB_INSC_IiEEEEPS5_SI_SI_NS9_4lessIiEEEE10hipError_tPvRmT0_T1_T2_T3_T4_T5_mmT6_P12ihipStream_tbEUlT_E_NS1_11comp_targetILNS1_3genE3ELNS1_11target_archE908ELNS1_3gpuE7ELNS1_3repE0EEENS1_30default_config_static_selectorELNS0_4arch9wavefront6targetE1EEEvSP_,comdat
.Lfunc_end4:
	.size	_ZN7rocprim17ROCPRIM_400000_NS6detail17trampoline_kernelINS0_14default_configENS1_21merge_config_selectorIiNS0_10empty_typeEEEZNS1_10merge_implIS3_N6thrust23THRUST_200600_302600_NS6detail15normal_iteratorINS9_10device_ptrIKiEEEESF_NSB_INSC_IiEEEEPS5_SI_SI_NS9_4lessIiEEEE10hipError_tPvRmT0_T1_T2_T3_T4_T5_mmT6_P12ihipStream_tbEUlT_E_NS1_11comp_targetILNS1_3genE3ELNS1_11target_archE908ELNS1_3gpuE7ELNS1_3repE0EEENS1_30default_config_static_selectorELNS0_4arch9wavefront6targetE1EEEvSP_, .Lfunc_end4-_ZN7rocprim17ROCPRIM_400000_NS6detail17trampoline_kernelINS0_14default_configENS1_21merge_config_selectorIiNS0_10empty_typeEEEZNS1_10merge_implIS3_N6thrust23THRUST_200600_302600_NS6detail15normal_iteratorINS9_10device_ptrIKiEEEESF_NSB_INSC_IiEEEEPS5_SI_SI_NS9_4lessIiEEEE10hipError_tPvRmT0_T1_T2_T3_T4_T5_mmT6_P12ihipStream_tbEUlT_E_NS1_11comp_targetILNS1_3genE3ELNS1_11target_archE908ELNS1_3gpuE7ELNS1_3repE0EEENS1_30default_config_static_selectorELNS0_4arch9wavefront6targetE1EEEvSP_
                                        ; -- End function
	.set _ZN7rocprim17ROCPRIM_400000_NS6detail17trampoline_kernelINS0_14default_configENS1_21merge_config_selectorIiNS0_10empty_typeEEEZNS1_10merge_implIS3_N6thrust23THRUST_200600_302600_NS6detail15normal_iteratorINS9_10device_ptrIKiEEEESF_NSB_INSC_IiEEEEPS5_SI_SI_NS9_4lessIiEEEE10hipError_tPvRmT0_T1_T2_T3_T4_T5_mmT6_P12ihipStream_tbEUlT_E_NS1_11comp_targetILNS1_3genE3ELNS1_11target_archE908ELNS1_3gpuE7ELNS1_3repE0EEENS1_30default_config_static_selectorELNS0_4arch9wavefront6targetE1EEEvSP_.num_vgpr, 0
	.set _ZN7rocprim17ROCPRIM_400000_NS6detail17trampoline_kernelINS0_14default_configENS1_21merge_config_selectorIiNS0_10empty_typeEEEZNS1_10merge_implIS3_N6thrust23THRUST_200600_302600_NS6detail15normal_iteratorINS9_10device_ptrIKiEEEESF_NSB_INSC_IiEEEEPS5_SI_SI_NS9_4lessIiEEEE10hipError_tPvRmT0_T1_T2_T3_T4_T5_mmT6_P12ihipStream_tbEUlT_E_NS1_11comp_targetILNS1_3genE3ELNS1_11target_archE908ELNS1_3gpuE7ELNS1_3repE0EEENS1_30default_config_static_selectorELNS0_4arch9wavefront6targetE1EEEvSP_.num_agpr, 0
	.set _ZN7rocprim17ROCPRIM_400000_NS6detail17trampoline_kernelINS0_14default_configENS1_21merge_config_selectorIiNS0_10empty_typeEEEZNS1_10merge_implIS3_N6thrust23THRUST_200600_302600_NS6detail15normal_iteratorINS9_10device_ptrIKiEEEESF_NSB_INSC_IiEEEEPS5_SI_SI_NS9_4lessIiEEEE10hipError_tPvRmT0_T1_T2_T3_T4_T5_mmT6_P12ihipStream_tbEUlT_E_NS1_11comp_targetILNS1_3genE3ELNS1_11target_archE908ELNS1_3gpuE7ELNS1_3repE0EEENS1_30default_config_static_selectorELNS0_4arch9wavefront6targetE1EEEvSP_.numbered_sgpr, 0
	.set _ZN7rocprim17ROCPRIM_400000_NS6detail17trampoline_kernelINS0_14default_configENS1_21merge_config_selectorIiNS0_10empty_typeEEEZNS1_10merge_implIS3_N6thrust23THRUST_200600_302600_NS6detail15normal_iteratorINS9_10device_ptrIKiEEEESF_NSB_INSC_IiEEEEPS5_SI_SI_NS9_4lessIiEEEE10hipError_tPvRmT0_T1_T2_T3_T4_T5_mmT6_P12ihipStream_tbEUlT_E_NS1_11comp_targetILNS1_3genE3ELNS1_11target_archE908ELNS1_3gpuE7ELNS1_3repE0EEENS1_30default_config_static_selectorELNS0_4arch9wavefront6targetE1EEEvSP_.num_named_barrier, 0
	.set _ZN7rocprim17ROCPRIM_400000_NS6detail17trampoline_kernelINS0_14default_configENS1_21merge_config_selectorIiNS0_10empty_typeEEEZNS1_10merge_implIS3_N6thrust23THRUST_200600_302600_NS6detail15normal_iteratorINS9_10device_ptrIKiEEEESF_NSB_INSC_IiEEEEPS5_SI_SI_NS9_4lessIiEEEE10hipError_tPvRmT0_T1_T2_T3_T4_T5_mmT6_P12ihipStream_tbEUlT_E_NS1_11comp_targetILNS1_3genE3ELNS1_11target_archE908ELNS1_3gpuE7ELNS1_3repE0EEENS1_30default_config_static_selectorELNS0_4arch9wavefront6targetE1EEEvSP_.private_seg_size, 0
	.set _ZN7rocprim17ROCPRIM_400000_NS6detail17trampoline_kernelINS0_14default_configENS1_21merge_config_selectorIiNS0_10empty_typeEEEZNS1_10merge_implIS3_N6thrust23THRUST_200600_302600_NS6detail15normal_iteratorINS9_10device_ptrIKiEEEESF_NSB_INSC_IiEEEEPS5_SI_SI_NS9_4lessIiEEEE10hipError_tPvRmT0_T1_T2_T3_T4_T5_mmT6_P12ihipStream_tbEUlT_E_NS1_11comp_targetILNS1_3genE3ELNS1_11target_archE908ELNS1_3gpuE7ELNS1_3repE0EEENS1_30default_config_static_selectorELNS0_4arch9wavefront6targetE1EEEvSP_.uses_vcc, 0
	.set _ZN7rocprim17ROCPRIM_400000_NS6detail17trampoline_kernelINS0_14default_configENS1_21merge_config_selectorIiNS0_10empty_typeEEEZNS1_10merge_implIS3_N6thrust23THRUST_200600_302600_NS6detail15normal_iteratorINS9_10device_ptrIKiEEEESF_NSB_INSC_IiEEEEPS5_SI_SI_NS9_4lessIiEEEE10hipError_tPvRmT0_T1_T2_T3_T4_T5_mmT6_P12ihipStream_tbEUlT_E_NS1_11comp_targetILNS1_3genE3ELNS1_11target_archE908ELNS1_3gpuE7ELNS1_3repE0EEENS1_30default_config_static_selectorELNS0_4arch9wavefront6targetE1EEEvSP_.uses_flat_scratch, 0
	.set _ZN7rocprim17ROCPRIM_400000_NS6detail17trampoline_kernelINS0_14default_configENS1_21merge_config_selectorIiNS0_10empty_typeEEEZNS1_10merge_implIS3_N6thrust23THRUST_200600_302600_NS6detail15normal_iteratorINS9_10device_ptrIKiEEEESF_NSB_INSC_IiEEEEPS5_SI_SI_NS9_4lessIiEEEE10hipError_tPvRmT0_T1_T2_T3_T4_T5_mmT6_P12ihipStream_tbEUlT_E_NS1_11comp_targetILNS1_3genE3ELNS1_11target_archE908ELNS1_3gpuE7ELNS1_3repE0EEENS1_30default_config_static_selectorELNS0_4arch9wavefront6targetE1EEEvSP_.has_dyn_sized_stack, 0
	.set _ZN7rocprim17ROCPRIM_400000_NS6detail17trampoline_kernelINS0_14default_configENS1_21merge_config_selectorIiNS0_10empty_typeEEEZNS1_10merge_implIS3_N6thrust23THRUST_200600_302600_NS6detail15normal_iteratorINS9_10device_ptrIKiEEEESF_NSB_INSC_IiEEEEPS5_SI_SI_NS9_4lessIiEEEE10hipError_tPvRmT0_T1_T2_T3_T4_T5_mmT6_P12ihipStream_tbEUlT_E_NS1_11comp_targetILNS1_3genE3ELNS1_11target_archE908ELNS1_3gpuE7ELNS1_3repE0EEENS1_30default_config_static_selectorELNS0_4arch9wavefront6targetE1EEEvSP_.has_recursion, 0
	.set _ZN7rocprim17ROCPRIM_400000_NS6detail17trampoline_kernelINS0_14default_configENS1_21merge_config_selectorIiNS0_10empty_typeEEEZNS1_10merge_implIS3_N6thrust23THRUST_200600_302600_NS6detail15normal_iteratorINS9_10device_ptrIKiEEEESF_NSB_INSC_IiEEEEPS5_SI_SI_NS9_4lessIiEEEE10hipError_tPvRmT0_T1_T2_T3_T4_T5_mmT6_P12ihipStream_tbEUlT_E_NS1_11comp_targetILNS1_3genE3ELNS1_11target_archE908ELNS1_3gpuE7ELNS1_3repE0EEENS1_30default_config_static_selectorELNS0_4arch9wavefront6targetE1EEEvSP_.has_indirect_call, 0
	.section	.AMDGPU.csdata,"",@progbits
; Kernel info:
; codeLenInByte = 0
; TotalNumSgprs: 4
; NumVgprs: 0
; ScratchSize: 0
; MemoryBound: 0
; FloatMode: 240
; IeeeMode: 1
; LDSByteSize: 0 bytes/workgroup (compile time only)
; SGPRBlocks: 0
; VGPRBlocks: 0
; NumSGPRsForWavesPerEU: 4
; NumVGPRsForWavesPerEU: 1
; Occupancy: 10
; WaveLimiterHint : 0
; COMPUTE_PGM_RSRC2:SCRATCH_EN: 0
; COMPUTE_PGM_RSRC2:USER_SGPR: 6
; COMPUTE_PGM_RSRC2:TRAP_HANDLER: 0
; COMPUTE_PGM_RSRC2:TGID_X_EN: 1
; COMPUTE_PGM_RSRC2:TGID_Y_EN: 0
; COMPUTE_PGM_RSRC2:TGID_Z_EN: 0
; COMPUTE_PGM_RSRC2:TIDIG_COMP_CNT: 0
	.section	.text._ZN7rocprim17ROCPRIM_400000_NS6detail17trampoline_kernelINS0_14default_configENS1_21merge_config_selectorIiNS0_10empty_typeEEEZNS1_10merge_implIS3_N6thrust23THRUST_200600_302600_NS6detail15normal_iteratorINS9_10device_ptrIKiEEEESF_NSB_INSC_IiEEEEPS5_SI_SI_NS9_4lessIiEEEE10hipError_tPvRmT0_T1_T2_T3_T4_T5_mmT6_P12ihipStream_tbEUlT_E_NS1_11comp_targetILNS1_3genE2ELNS1_11target_archE906ELNS1_3gpuE6ELNS1_3repE0EEENS1_30default_config_static_selectorELNS0_4arch9wavefront6targetE1EEEvSP_,"axG",@progbits,_ZN7rocprim17ROCPRIM_400000_NS6detail17trampoline_kernelINS0_14default_configENS1_21merge_config_selectorIiNS0_10empty_typeEEEZNS1_10merge_implIS3_N6thrust23THRUST_200600_302600_NS6detail15normal_iteratorINS9_10device_ptrIKiEEEESF_NSB_INSC_IiEEEEPS5_SI_SI_NS9_4lessIiEEEE10hipError_tPvRmT0_T1_T2_T3_T4_T5_mmT6_P12ihipStream_tbEUlT_E_NS1_11comp_targetILNS1_3genE2ELNS1_11target_archE906ELNS1_3gpuE6ELNS1_3repE0EEENS1_30default_config_static_selectorELNS0_4arch9wavefront6targetE1EEEvSP_,comdat
	.protected	_ZN7rocprim17ROCPRIM_400000_NS6detail17trampoline_kernelINS0_14default_configENS1_21merge_config_selectorIiNS0_10empty_typeEEEZNS1_10merge_implIS3_N6thrust23THRUST_200600_302600_NS6detail15normal_iteratorINS9_10device_ptrIKiEEEESF_NSB_INSC_IiEEEEPS5_SI_SI_NS9_4lessIiEEEE10hipError_tPvRmT0_T1_T2_T3_T4_T5_mmT6_P12ihipStream_tbEUlT_E_NS1_11comp_targetILNS1_3genE2ELNS1_11target_archE906ELNS1_3gpuE6ELNS1_3repE0EEENS1_30default_config_static_selectorELNS0_4arch9wavefront6targetE1EEEvSP_ ; -- Begin function _ZN7rocprim17ROCPRIM_400000_NS6detail17trampoline_kernelINS0_14default_configENS1_21merge_config_selectorIiNS0_10empty_typeEEEZNS1_10merge_implIS3_N6thrust23THRUST_200600_302600_NS6detail15normal_iteratorINS9_10device_ptrIKiEEEESF_NSB_INSC_IiEEEEPS5_SI_SI_NS9_4lessIiEEEE10hipError_tPvRmT0_T1_T2_T3_T4_T5_mmT6_P12ihipStream_tbEUlT_E_NS1_11comp_targetILNS1_3genE2ELNS1_11target_archE906ELNS1_3gpuE6ELNS1_3repE0EEENS1_30default_config_static_selectorELNS0_4arch9wavefront6targetE1EEEvSP_
	.globl	_ZN7rocprim17ROCPRIM_400000_NS6detail17trampoline_kernelINS0_14default_configENS1_21merge_config_selectorIiNS0_10empty_typeEEEZNS1_10merge_implIS3_N6thrust23THRUST_200600_302600_NS6detail15normal_iteratorINS9_10device_ptrIKiEEEESF_NSB_INSC_IiEEEEPS5_SI_SI_NS9_4lessIiEEEE10hipError_tPvRmT0_T1_T2_T3_T4_T5_mmT6_P12ihipStream_tbEUlT_E_NS1_11comp_targetILNS1_3genE2ELNS1_11target_archE906ELNS1_3gpuE6ELNS1_3repE0EEENS1_30default_config_static_selectorELNS0_4arch9wavefront6targetE1EEEvSP_
	.p2align	8
	.type	_ZN7rocprim17ROCPRIM_400000_NS6detail17trampoline_kernelINS0_14default_configENS1_21merge_config_selectorIiNS0_10empty_typeEEEZNS1_10merge_implIS3_N6thrust23THRUST_200600_302600_NS6detail15normal_iteratorINS9_10device_ptrIKiEEEESF_NSB_INSC_IiEEEEPS5_SI_SI_NS9_4lessIiEEEE10hipError_tPvRmT0_T1_T2_T3_T4_T5_mmT6_P12ihipStream_tbEUlT_E_NS1_11comp_targetILNS1_3genE2ELNS1_11target_archE906ELNS1_3gpuE6ELNS1_3repE0EEENS1_30default_config_static_selectorELNS0_4arch9wavefront6targetE1EEEvSP_,@function
_ZN7rocprim17ROCPRIM_400000_NS6detail17trampoline_kernelINS0_14default_configENS1_21merge_config_selectorIiNS0_10empty_typeEEEZNS1_10merge_implIS3_N6thrust23THRUST_200600_302600_NS6detail15normal_iteratorINS9_10device_ptrIKiEEEESF_NSB_INSC_IiEEEEPS5_SI_SI_NS9_4lessIiEEEE10hipError_tPvRmT0_T1_T2_T3_T4_T5_mmT6_P12ihipStream_tbEUlT_E_NS1_11comp_targetILNS1_3genE2ELNS1_11target_archE906ELNS1_3gpuE6ELNS1_3repE0EEENS1_30default_config_static_selectorELNS0_4arch9wavefront6targetE1EEEvSP_: ; @_ZN7rocprim17ROCPRIM_400000_NS6detail17trampoline_kernelINS0_14default_configENS1_21merge_config_selectorIiNS0_10empty_typeEEEZNS1_10merge_implIS3_N6thrust23THRUST_200600_302600_NS6detail15normal_iteratorINS9_10device_ptrIKiEEEESF_NSB_INSC_IiEEEEPS5_SI_SI_NS9_4lessIiEEEE10hipError_tPvRmT0_T1_T2_T3_T4_T5_mmT6_P12ihipStream_tbEUlT_E_NS1_11comp_targetILNS1_3genE2ELNS1_11target_archE906ELNS1_3gpuE6ELNS1_3repE0EEENS1_30default_config_static_selectorELNS0_4arch9wavefront6targetE1EEEvSP_
; %bb.0:
	s_load_dword s7, s[4:5], 0x28
	s_load_dwordx2 s[0:1], s[4:5], 0x20
	s_load_dword s2, s[4:5], 0x3c
	s_load_dwordx8 s[8:15], s[4:5], 0x0
	s_waitcnt lgkmcnt(0)
	v_cvt_f32_u32_e32 v1, s7
	s_and_b32 s3, s2, 0xffff
	s_add_u32 s2, s0, s14
	v_rcp_iflag_f32_e32 v1, v1
	s_mul_i32 s6, s6, s3
	s_addc_u32 s3, s1, s15
	v_add_u32_e32 v0, s6, v0
	v_mul_f32_e32 v1, 0x4f7ffffe, v1
	v_cvt_u32_f32_e32 v1, v1
	s_sub_i32 s5, 0, s7
	s_add_i32 s4, s7, s2
	s_add_i32 s4, s4, -1
	v_readfirstlane_b32 s6, v1
	s_mul_i32 s5, s5, s6
	s_mul_hi_u32 s5, s6, s5
	s_add_i32 s6, s6, s5
	s_mul_hi_u32 s5, s4, s6
	s_mul_i32 s6, s5, s7
	s_sub_i32 s4, s4, s6
	s_add_i32 s6, s5, 1
	s_sub_i32 s16, s4, s7
	s_cmp_ge_u32 s4, s7
	s_cselect_b32 s5, s6, s5
	s_cselect_b32 s4, s16, s4
	s_add_i32 s6, s5, 1
	s_cmp_ge_u32 s4, s7
	s_cselect_b32 s4, s6, s5
	v_cmp_ge_u32_e32 vcc, s4, v0
	s_and_saveexec_b64 s[4:5], vcc
	s_cbranch_execz .LBB5_6
; %bb.1:
	v_mul_lo_u32 v1, v0, s7
	v_mov_b32_e32 v2, 0
	v_mov_b32_e32 v4, s2
	;; [unrolled: 1-line block ×3, first 2 shown]
	v_cmp_gt_u64_e32 vcc, s[2:3], v[1:2]
	v_mov_b32_e32 v2, s1
	v_cndmask_b32_e32 v6, v4, v1, vcc
	v_cndmask_b32_e64 v7, v3, 0, vcc
	v_subrev_co_u32_e32 v1, vcc, s0, v6
	v_subb_co_u32_e32 v2, vcc, v7, v2, vcc
	v_cmp_gt_u64_e32 vcc, v[1:2], v[6:7]
	v_cndmask_b32_e64 v3, v2, 0, vcc
	v_cndmask_b32_e64 v2, v1, 0, vcc
	v_cmp_gt_u64_e32 vcc, s[14:15], v[6:7]
	v_mov_b32_e32 v1, s15
	v_cndmask_b32_e32 v5, v1, v7, vcc
	v_mov_b32_e32 v1, s14
	v_cndmask_b32_e32 v4, v1, v6, vcc
	v_cmp_lt_u64_e32 vcc, v[2:3], v[4:5]
	s_and_saveexec_b64 s[0:1], vcc
	s_cbranch_execz .LBB5_5
; %bb.2:
	v_lshlrev_b64 v[6:7], 2, v[6:7]
	v_mov_b32_e32 v8, s13
	v_add_co_u32_e32 v1, vcc, s12, v6
	v_addc_co_u32_e32 v6, vcc, v8, v7, vcc
	s_mov_b64 s[2:3], 0
.LBB5_3:                                ; =>This Inner Loop Header: Depth=1
	v_add_co_u32_e32 v7, vcc, v4, v2
	v_addc_co_u32_e32 v8, vcc, v5, v3, vcc
	v_lshrrev_b64 v[7:8], 1, v[7:8]
	v_mov_b32_e32 v12, s11
	v_lshlrev_b64 v[9:10], 2, v[7:8]
	v_add_co_u32_e32 v11, vcc, s10, v9
	v_addc_co_u32_e32 v12, vcc, v12, v10, vcc
	v_xor_b32_e32 v9, -4, v9
	v_xor_b32_e32 v10, -1, v10
	v_add_co_u32_e32 v9, vcc, v1, v9
	v_addc_co_u32_e32 v10, vcc, v6, v10, vcc
	global_load_dword v11, v[11:12], off
	s_nop 0
	global_load_dword v9, v[9:10], off
	v_add_co_u32_e32 v10, vcc, 1, v7
	v_addc_co_u32_e32 v12, vcc, 0, v8, vcc
	s_waitcnt vmcnt(0)
	v_cmp_lt_i32_e32 vcc, v9, v11
	v_cndmask_b32_e32 v5, v5, v8, vcc
	v_cndmask_b32_e32 v4, v4, v7, vcc
	;; [unrolled: 1-line block ×4, first 2 shown]
	v_cmp_ge_u64_e32 vcc, v[2:3], v[4:5]
	s_or_b64 s[2:3], vcc, s[2:3]
	s_andn2_b64 exec, exec, s[2:3]
	s_cbranch_execnz .LBB5_3
; %bb.4:
	s_or_b64 exec, exec, s[2:3]
.LBB5_5:
	s_or_b64 exec, exec, s[0:1]
	v_mov_b32_e32 v1, 0
	v_lshlrev_b64 v[0:1], 2, v[0:1]
	v_mov_b32_e32 v3, s9
	v_add_co_u32_e32 v0, vcc, s8, v0
	v_addc_co_u32_e32 v1, vcc, v3, v1, vcc
	global_store_dword v[0:1], v2, off
.LBB5_6:
	s_endpgm
	.section	.rodata,"a",@progbits
	.p2align	6, 0x0
	.amdhsa_kernel _ZN7rocprim17ROCPRIM_400000_NS6detail17trampoline_kernelINS0_14default_configENS1_21merge_config_selectorIiNS0_10empty_typeEEEZNS1_10merge_implIS3_N6thrust23THRUST_200600_302600_NS6detail15normal_iteratorINS9_10device_ptrIKiEEEESF_NSB_INSC_IiEEEEPS5_SI_SI_NS9_4lessIiEEEE10hipError_tPvRmT0_T1_T2_T3_T4_T5_mmT6_P12ihipStream_tbEUlT_E_NS1_11comp_targetILNS1_3genE2ELNS1_11target_archE906ELNS1_3gpuE6ELNS1_3repE0EEENS1_30default_config_static_selectorELNS0_4arch9wavefront6targetE1EEEvSP_
		.amdhsa_group_segment_fixed_size 0
		.amdhsa_private_segment_fixed_size 0
		.amdhsa_kernarg_size 304
		.amdhsa_user_sgpr_count 6
		.amdhsa_user_sgpr_private_segment_buffer 1
		.amdhsa_user_sgpr_dispatch_ptr 0
		.amdhsa_user_sgpr_queue_ptr 0
		.amdhsa_user_sgpr_kernarg_segment_ptr 1
		.amdhsa_user_sgpr_dispatch_id 0
		.amdhsa_user_sgpr_flat_scratch_init 0
		.amdhsa_user_sgpr_private_segment_size 0
		.amdhsa_uses_dynamic_stack 0
		.amdhsa_system_sgpr_private_segment_wavefront_offset 0
		.amdhsa_system_sgpr_workgroup_id_x 1
		.amdhsa_system_sgpr_workgroup_id_y 0
		.amdhsa_system_sgpr_workgroup_id_z 0
		.amdhsa_system_sgpr_workgroup_info 0
		.amdhsa_system_vgpr_workitem_id 0
		.amdhsa_next_free_vgpr 13
		.amdhsa_next_free_sgpr 17
		.amdhsa_reserve_vcc 1
		.amdhsa_reserve_flat_scratch 0
		.amdhsa_float_round_mode_32 0
		.amdhsa_float_round_mode_16_64 0
		.amdhsa_float_denorm_mode_32 3
		.amdhsa_float_denorm_mode_16_64 3
		.amdhsa_dx10_clamp 1
		.amdhsa_ieee_mode 1
		.amdhsa_fp16_overflow 0
		.amdhsa_exception_fp_ieee_invalid_op 0
		.amdhsa_exception_fp_denorm_src 0
		.amdhsa_exception_fp_ieee_div_zero 0
		.amdhsa_exception_fp_ieee_overflow 0
		.amdhsa_exception_fp_ieee_underflow 0
		.amdhsa_exception_fp_ieee_inexact 0
		.amdhsa_exception_int_div_zero 0
	.end_amdhsa_kernel
	.section	.text._ZN7rocprim17ROCPRIM_400000_NS6detail17trampoline_kernelINS0_14default_configENS1_21merge_config_selectorIiNS0_10empty_typeEEEZNS1_10merge_implIS3_N6thrust23THRUST_200600_302600_NS6detail15normal_iteratorINS9_10device_ptrIKiEEEESF_NSB_INSC_IiEEEEPS5_SI_SI_NS9_4lessIiEEEE10hipError_tPvRmT0_T1_T2_T3_T4_T5_mmT6_P12ihipStream_tbEUlT_E_NS1_11comp_targetILNS1_3genE2ELNS1_11target_archE906ELNS1_3gpuE6ELNS1_3repE0EEENS1_30default_config_static_selectorELNS0_4arch9wavefront6targetE1EEEvSP_,"axG",@progbits,_ZN7rocprim17ROCPRIM_400000_NS6detail17trampoline_kernelINS0_14default_configENS1_21merge_config_selectorIiNS0_10empty_typeEEEZNS1_10merge_implIS3_N6thrust23THRUST_200600_302600_NS6detail15normal_iteratorINS9_10device_ptrIKiEEEESF_NSB_INSC_IiEEEEPS5_SI_SI_NS9_4lessIiEEEE10hipError_tPvRmT0_T1_T2_T3_T4_T5_mmT6_P12ihipStream_tbEUlT_E_NS1_11comp_targetILNS1_3genE2ELNS1_11target_archE906ELNS1_3gpuE6ELNS1_3repE0EEENS1_30default_config_static_selectorELNS0_4arch9wavefront6targetE1EEEvSP_,comdat
.Lfunc_end5:
	.size	_ZN7rocprim17ROCPRIM_400000_NS6detail17trampoline_kernelINS0_14default_configENS1_21merge_config_selectorIiNS0_10empty_typeEEEZNS1_10merge_implIS3_N6thrust23THRUST_200600_302600_NS6detail15normal_iteratorINS9_10device_ptrIKiEEEESF_NSB_INSC_IiEEEEPS5_SI_SI_NS9_4lessIiEEEE10hipError_tPvRmT0_T1_T2_T3_T4_T5_mmT6_P12ihipStream_tbEUlT_E_NS1_11comp_targetILNS1_3genE2ELNS1_11target_archE906ELNS1_3gpuE6ELNS1_3repE0EEENS1_30default_config_static_selectorELNS0_4arch9wavefront6targetE1EEEvSP_, .Lfunc_end5-_ZN7rocprim17ROCPRIM_400000_NS6detail17trampoline_kernelINS0_14default_configENS1_21merge_config_selectorIiNS0_10empty_typeEEEZNS1_10merge_implIS3_N6thrust23THRUST_200600_302600_NS6detail15normal_iteratorINS9_10device_ptrIKiEEEESF_NSB_INSC_IiEEEEPS5_SI_SI_NS9_4lessIiEEEE10hipError_tPvRmT0_T1_T2_T3_T4_T5_mmT6_P12ihipStream_tbEUlT_E_NS1_11comp_targetILNS1_3genE2ELNS1_11target_archE906ELNS1_3gpuE6ELNS1_3repE0EEENS1_30default_config_static_selectorELNS0_4arch9wavefront6targetE1EEEvSP_
                                        ; -- End function
	.set _ZN7rocprim17ROCPRIM_400000_NS6detail17trampoline_kernelINS0_14default_configENS1_21merge_config_selectorIiNS0_10empty_typeEEEZNS1_10merge_implIS3_N6thrust23THRUST_200600_302600_NS6detail15normal_iteratorINS9_10device_ptrIKiEEEESF_NSB_INSC_IiEEEEPS5_SI_SI_NS9_4lessIiEEEE10hipError_tPvRmT0_T1_T2_T3_T4_T5_mmT6_P12ihipStream_tbEUlT_E_NS1_11comp_targetILNS1_3genE2ELNS1_11target_archE906ELNS1_3gpuE6ELNS1_3repE0EEENS1_30default_config_static_selectorELNS0_4arch9wavefront6targetE1EEEvSP_.num_vgpr, 13
	.set _ZN7rocprim17ROCPRIM_400000_NS6detail17trampoline_kernelINS0_14default_configENS1_21merge_config_selectorIiNS0_10empty_typeEEEZNS1_10merge_implIS3_N6thrust23THRUST_200600_302600_NS6detail15normal_iteratorINS9_10device_ptrIKiEEEESF_NSB_INSC_IiEEEEPS5_SI_SI_NS9_4lessIiEEEE10hipError_tPvRmT0_T1_T2_T3_T4_T5_mmT6_P12ihipStream_tbEUlT_E_NS1_11comp_targetILNS1_3genE2ELNS1_11target_archE906ELNS1_3gpuE6ELNS1_3repE0EEENS1_30default_config_static_selectorELNS0_4arch9wavefront6targetE1EEEvSP_.num_agpr, 0
	.set _ZN7rocprim17ROCPRIM_400000_NS6detail17trampoline_kernelINS0_14default_configENS1_21merge_config_selectorIiNS0_10empty_typeEEEZNS1_10merge_implIS3_N6thrust23THRUST_200600_302600_NS6detail15normal_iteratorINS9_10device_ptrIKiEEEESF_NSB_INSC_IiEEEEPS5_SI_SI_NS9_4lessIiEEEE10hipError_tPvRmT0_T1_T2_T3_T4_T5_mmT6_P12ihipStream_tbEUlT_E_NS1_11comp_targetILNS1_3genE2ELNS1_11target_archE906ELNS1_3gpuE6ELNS1_3repE0EEENS1_30default_config_static_selectorELNS0_4arch9wavefront6targetE1EEEvSP_.numbered_sgpr, 17
	.set _ZN7rocprim17ROCPRIM_400000_NS6detail17trampoline_kernelINS0_14default_configENS1_21merge_config_selectorIiNS0_10empty_typeEEEZNS1_10merge_implIS3_N6thrust23THRUST_200600_302600_NS6detail15normal_iteratorINS9_10device_ptrIKiEEEESF_NSB_INSC_IiEEEEPS5_SI_SI_NS9_4lessIiEEEE10hipError_tPvRmT0_T1_T2_T3_T4_T5_mmT6_P12ihipStream_tbEUlT_E_NS1_11comp_targetILNS1_3genE2ELNS1_11target_archE906ELNS1_3gpuE6ELNS1_3repE0EEENS1_30default_config_static_selectorELNS0_4arch9wavefront6targetE1EEEvSP_.num_named_barrier, 0
	.set _ZN7rocprim17ROCPRIM_400000_NS6detail17trampoline_kernelINS0_14default_configENS1_21merge_config_selectorIiNS0_10empty_typeEEEZNS1_10merge_implIS3_N6thrust23THRUST_200600_302600_NS6detail15normal_iteratorINS9_10device_ptrIKiEEEESF_NSB_INSC_IiEEEEPS5_SI_SI_NS9_4lessIiEEEE10hipError_tPvRmT0_T1_T2_T3_T4_T5_mmT6_P12ihipStream_tbEUlT_E_NS1_11comp_targetILNS1_3genE2ELNS1_11target_archE906ELNS1_3gpuE6ELNS1_3repE0EEENS1_30default_config_static_selectorELNS0_4arch9wavefront6targetE1EEEvSP_.private_seg_size, 0
	.set _ZN7rocprim17ROCPRIM_400000_NS6detail17trampoline_kernelINS0_14default_configENS1_21merge_config_selectorIiNS0_10empty_typeEEEZNS1_10merge_implIS3_N6thrust23THRUST_200600_302600_NS6detail15normal_iteratorINS9_10device_ptrIKiEEEESF_NSB_INSC_IiEEEEPS5_SI_SI_NS9_4lessIiEEEE10hipError_tPvRmT0_T1_T2_T3_T4_T5_mmT6_P12ihipStream_tbEUlT_E_NS1_11comp_targetILNS1_3genE2ELNS1_11target_archE906ELNS1_3gpuE6ELNS1_3repE0EEENS1_30default_config_static_selectorELNS0_4arch9wavefront6targetE1EEEvSP_.uses_vcc, 1
	.set _ZN7rocprim17ROCPRIM_400000_NS6detail17trampoline_kernelINS0_14default_configENS1_21merge_config_selectorIiNS0_10empty_typeEEEZNS1_10merge_implIS3_N6thrust23THRUST_200600_302600_NS6detail15normal_iteratorINS9_10device_ptrIKiEEEESF_NSB_INSC_IiEEEEPS5_SI_SI_NS9_4lessIiEEEE10hipError_tPvRmT0_T1_T2_T3_T4_T5_mmT6_P12ihipStream_tbEUlT_E_NS1_11comp_targetILNS1_3genE2ELNS1_11target_archE906ELNS1_3gpuE6ELNS1_3repE0EEENS1_30default_config_static_selectorELNS0_4arch9wavefront6targetE1EEEvSP_.uses_flat_scratch, 0
	.set _ZN7rocprim17ROCPRIM_400000_NS6detail17trampoline_kernelINS0_14default_configENS1_21merge_config_selectorIiNS0_10empty_typeEEEZNS1_10merge_implIS3_N6thrust23THRUST_200600_302600_NS6detail15normal_iteratorINS9_10device_ptrIKiEEEESF_NSB_INSC_IiEEEEPS5_SI_SI_NS9_4lessIiEEEE10hipError_tPvRmT0_T1_T2_T3_T4_T5_mmT6_P12ihipStream_tbEUlT_E_NS1_11comp_targetILNS1_3genE2ELNS1_11target_archE906ELNS1_3gpuE6ELNS1_3repE0EEENS1_30default_config_static_selectorELNS0_4arch9wavefront6targetE1EEEvSP_.has_dyn_sized_stack, 0
	.set _ZN7rocprim17ROCPRIM_400000_NS6detail17trampoline_kernelINS0_14default_configENS1_21merge_config_selectorIiNS0_10empty_typeEEEZNS1_10merge_implIS3_N6thrust23THRUST_200600_302600_NS6detail15normal_iteratorINS9_10device_ptrIKiEEEESF_NSB_INSC_IiEEEEPS5_SI_SI_NS9_4lessIiEEEE10hipError_tPvRmT0_T1_T2_T3_T4_T5_mmT6_P12ihipStream_tbEUlT_E_NS1_11comp_targetILNS1_3genE2ELNS1_11target_archE906ELNS1_3gpuE6ELNS1_3repE0EEENS1_30default_config_static_selectorELNS0_4arch9wavefront6targetE1EEEvSP_.has_recursion, 0
	.set _ZN7rocprim17ROCPRIM_400000_NS6detail17trampoline_kernelINS0_14default_configENS1_21merge_config_selectorIiNS0_10empty_typeEEEZNS1_10merge_implIS3_N6thrust23THRUST_200600_302600_NS6detail15normal_iteratorINS9_10device_ptrIKiEEEESF_NSB_INSC_IiEEEEPS5_SI_SI_NS9_4lessIiEEEE10hipError_tPvRmT0_T1_T2_T3_T4_T5_mmT6_P12ihipStream_tbEUlT_E_NS1_11comp_targetILNS1_3genE2ELNS1_11target_archE906ELNS1_3gpuE6ELNS1_3repE0EEENS1_30default_config_static_selectorELNS0_4arch9wavefront6targetE1EEEvSP_.has_indirect_call, 0
	.section	.AMDGPU.csdata,"",@progbits
; Kernel info:
; codeLenInByte = 452
; TotalNumSgprs: 21
; NumVgprs: 13
; ScratchSize: 0
; MemoryBound: 0
; FloatMode: 240
; IeeeMode: 1
; LDSByteSize: 0 bytes/workgroup (compile time only)
; SGPRBlocks: 2
; VGPRBlocks: 3
; NumSGPRsForWavesPerEU: 21
; NumVGPRsForWavesPerEU: 13
; Occupancy: 10
; WaveLimiterHint : 0
; COMPUTE_PGM_RSRC2:SCRATCH_EN: 0
; COMPUTE_PGM_RSRC2:USER_SGPR: 6
; COMPUTE_PGM_RSRC2:TRAP_HANDLER: 0
; COMPUTE_PGM_RSRC2:TGID_X_EN: 1
; COMPUTE_PGM_RSRC2:TGID_Y_EN: 0
; COMPUTE_PGM_RSRC2:TGID_Z_EN: 0
; COMPUTE_PGM_RSRC2:TIDIG_COMP_CNT: 0
	.section	.text._ZN7rocprim17ROCPRIM_400000_NS6detail17trampoline_kernelINS0_14default_configENS1_21merge_config_selectorIiNS0_10empty_typeEEEZNS1_10merge_implIS3_N6thrust23THRUST_200600_302600_NS6detail15normal_iteratorINS9_10device_ptrIKiEEEESF_NSB_INSC_IiEEEEPS5_SI_SI_NS9_4lessIiEEEE10hipError_tPvRmT0_T1_T2_T3_T4_T5_mmT6_P12ihipStream_tbEUlT_E_NS1_11comp_targetILNS1_3genE10ELNS1_11target_archE1201ELNS1_3gpuE5ELNS1_3repE0EEENS1_30default_config_static_selectorELNS0_4arch9wavefront6targetE1EEEvSP_,"axG",@progbits,_ZN7rocprim17ROCPRIM_400000_NS6detail17trampoline_kernelINS0_14default_configENS1_21merge_config_selectorIiNS0_10empty_typeEEEZNS1_10merge_implIS3_N6thrust23THRUST_200600_302600_NS6detail15normal_iteratorINS9_10device_ptrIKiEEEESF_NSB_INSC_IiEEEEPS5_SI_SI_NS9_4lessIiEEEE10hipError_tPvRmT0_T1_T2_T3_T4_T5_mmT6_P12ihipStream_tbEUlT_E_NS1_11comp_targetILNS1_3genE10ELNS1_11target_archE1201ELNS1_3gpuE5ELNS1_3repE0EEENS1_30default_config_static_selectorELNS0_4arch9wavefront6targetE1EEEvSP_,comdat
	.protected	_ZN7rocprim17ROCPRIM_400000_NS6detail17trampoline_kernelINS0_14default_configENS1_21merge_config_selectorIiNS0_10empty_typeEEEZNS1_10merge_implIS3_N6thrust23THRUST_200600_302600_NS6detail15normal_iteratorINS9_10device_ptrIKiEEEESF_NSB_INSC_IiEEEEPS5_SI_SI_NS9_4lessIiEEEE10hipError_tPvRmT0_T1_T2_T3_T4_T5_mmT6_P12ihipStream_tbEUlT_E_NS1_11comp_targetILNS1_3genE10ELNS1_11target_archE1201ELNS1_3gpuE5ELNS1_3repE0EEENS1_30default_config_static_selectorELNS0_4arch9wavefront6targetE1EEEvSP_ ; -- Begin function _ZN7rocprim17ROCPRIM_400000_NS6detail17trampoline_kernelINS0_14default_configENS1_21merge_config_selectorIiNS0_10empty_typeEEEZNS1_10merge_implIS3_N6thrust23THRUST_200600_302600_NS6detail15normal_iteratorINS9_10device_ptrIKiEEEESF_NSB_INSC_IiEEEEPS5_SI_SI_NS9_4lessIiEEEE10hipError_tPvRmT0_T1_T2_T3_T4_T5_mmT6_P12ihipStream_tbEUlT_E_NS1_11comp_targetILNS1_3genE10ELNS1_11target_archE1201ELNS1_3gpuE5ELNS1_3repE0EEENS1_30default_config_static_selectorELNS0_4arch9wavefront6targetE1EEEvSP_
	.globl	_ZN7rocprim17ROCPRIM_400000_NS6detail17trampoline_kernelINS0_14default_configENS1_21merge_config_selectorIiNS0_10empty_typeEEEZNS1_10merge_implIS3_N6thrust23THRUST_200600_302600_NS6detail15normal_iteratorINS9_10device_ptrIKiEEEESF_NSB_INSC_IiEEEEPS5_SI_SI_NS9_4lessIiEEEE10hipError_tPvRmT0_T1_T2_T3_T4_T5_mmT6_P12ihipStream_tbEUlT_E_NS1_11comp_targetILNS1_3genE10ELNS1_11target_archE1201ELNS1_3gpuE5ELNS1_3repE0EEENS1_30default_config_static_selectorELNS0_4arch9wavefront6targetE1EEEvSP_
	.p2align	8
	.type	_ZN7rocprim17ROCPRIM_400000_NS6detail17trampoline_kernelINS0_14default_configENS1_21merge_config_selectorIiNS0_10empty_typeEEEZNS1_10merge_implIS3_N6thrust23THRUST_200600_302600_NS6detail15normal_iteratorINS9_10device_ptrIKiEEEESF_NSB_INSC_IiEEEEPS5_SI_SI_NS9_4lessIiEEEE10hipError_tPvRmT0_T1_T2_T3_T4_T5_mmT6_P12ihipStream_tbEUlT_E_NS1_11comp_targetILNS1_3genE10ELNS1_11target_archE1201ELNS1_3gpuE5ELNS1_3repE0EEENS1_30default_config_static_selectorELNS0_4arch9wavefront6targetE1EEEvSP_,@function
_ZN7rocprim17ROCPRIM_400000_NS6detail17trampoline_kernelINS0_14default_configENS1_21merge_config_selectorIiNS0_10empty_typeEEEZNS1_10merge_implIS3_N6thrust23THRUST_200600_302600_NS6detail15normal_iteratorINS9_10device_ptrIKiEEEESF_NSB_INSC_IiEEEEPS5_SI_SI_NS9_4lessIiEEEE10hipError_tPvRmT0_T1_T2_T3_T4_T5_mmT6_P12ihipStream_tbEUlT_E_NS1_11comp_targetILNS1_3genE10ELNS1_11target_archE1201ELNS1_3gpuE5ELNS1_3repE0EEENS1_30default_config_static_selectorELNS0_4arch9wavefront6targetE1EEEvSP_: ; @_ZN7rocprim17ROCPRIM_400000_NS6detail17trampoline_kernelINS0_14default_configENS1_21merge_config_selectorIiNS0_10empty_typeEEEZNS1_10merge_implIS3_N6thrust23THRUST_200600_302600_NS6detail15normal_iteratorINS9_10device_ptrIKiEEEESF_NSB_INSC_IiEEEEPS5_SI_SI_NS9_4lessIiEEEE10hipError_tPvRmT0_T1_T2_T3_T4_T5_mmT6_P12ihipStream_tbEUlT_E_NS1_11comp_targetILNS1_3genE10ELNS1_11target_archE1201ELNS1_3gpuE5ELNS1_3repE0EEENS1_30default_config_static_selectorELNS0_4arch9wavefront6targetE1EEEvSP_
; %bb.0:
	.section	.rodata,"a",@progbits
	.p2align	6, 0x0
	.amdhsa_kernel _ZN7rocprim17ROCPRIM_400000_NS6detail17trampoline_kernelINS0_14default_configENS1_21merge_config_selectorIiNS0_10empty_typeEEEZNS1_10merge_implIS3_N6thrust23THRUST_200600_302600_NS6detail15normal_iteratorINS9_10device_ptrIKiEEEESF_NSB_INSC_IiEEEEPS5_SI_SI_NS9_4lessIiEEEE10hipError_tPvRmT0_T1_T2_T3_T4_T5_mmT6_P12ihipStream_tbEUlT_E_NS1_11comp_targetILNS1_3genE10ELNS1_11target_archE1201ELNS1_3gpuE5ELNS1_3repE0EEENS1_30default_config_static_selectorELNS0_4arch9wavefront6targetE1EEEvSP_
		.amdhsa_group_segment_fixed_size 0
		.amdhsa_private_segment_fixed_size 0
		.amdhsa_kernarg_size 48
		.amdhsa_user_sgpr_count 6
		.amdhsa_user_sgpr_private_segment_buffer 1
		.amdhsa_user_sgpr_dispatch_ptr 0
		.amdhsa_user_sgpr_queue_ptr 0
		.amdhsa_user_sgpr_kernarg_segment_ptr 1
		.amdhsa_user_sgpr_dispatch_id 0
		.amdhsa_user_sgpr_flat_scratch_init 0
		.amdhsa_user_sgpr_private_segment_size 0
		.amdhsa_uses_dynamic_stack 0
		.amdhsa_system_sgpr_private_segment_wavefront_offset 0
		.amdhsa_system_sgpr_workgroup_id_x 1
		.amdhsa_system_sgpr_workgroup_id_y 0
		.amdhsa_system_sgpr_workgroup_id_z 0
		.amdhsa_system_sgpr_workgroup_info 0
		.amdhsa_system_vgpr_workitem_id 0
		.amdhsa_next_free_vgpr 1
		.amdhsa_next_free_sgpr 0
		.amdhsa_reserve_vcc 0
		.amdhsa_reserve_flat_scratch 0
		.amdhsa_float_round_mode_32 0
		.amdhsa_float_round_mode_16_64 0
		.amdhsa_float_denorm_mode_32 3
		.amdhsa_float_denorm_mode_16_64 3
		.amdhsa_dx10_clamp 1
		.amdhsa_ieee_mode 1
		.amdhsa_fp16_overflow 0
		.amdhsa_exception_fp_ieee_invalid_op 0
		.amdhsa_exception_fp_denorm_src 0
		.amdhsa_exception_fp_ieee_div_zero 0
		.amdhsa_exception_fp_ieee_overflow 0
		.amdhsa_exception_fp_ieee_underflow 0
		.amdhsa_exception_fp_ieee_inexact 0
		.amdhsa_exception_int_div_zero 0
	.end_amdhsa_kernel
	.section	.text._ZN7rocprim17ROCPRIM_400000_NS6detail17trampoline_kernelINS0_14default_configENS1_21merge_config_selectorIiNS0_10empty_typeEEEZNS1_10merge_implIS3_N6thrust23THRUST_200600_302600_NS6detail15normal_iteratorINS9_10device_ptrIKiEEEESF_NSB_INSC_IiEEEEPS5_SI_SI_NS9_4lessIiEEEE10hipError_tPvRmT0_T1_T2_T3_T4_T5_mmT6_P12ihipStream_tbEUlT_E_NS1_11comp_targetILNS1_3genE10ELNS1_11target_archE1201ELNS1_3gpuE5ELNS1_3repE0EEENS1_30default_config_static_selectorELNS0_4arch9wavefront6targetE1EEEvSP_,"axG",@progbits,_ZN7rocprim17ROCPRIM_400000_NS6detail17trampoline_kernelINS0_14default_configENS1_21merge_config_selectorIiNS0_10empty_typeEEEZNS1_10merge_implIS3_N6thrust23THRUST_200600_302600_NS6detail15normal_iteratorINS9_10device_ptrIKiEEEESF_NSB_INSC_IiEEEEPS5_SI_SI_NS9_4lessIiEEEE10hipError_tPvRmT0_T1_T2_T3_T4_T5_mmT6_P12ihipStream_tbEUlT_E_NS1_11comp_targetILNS1_3genE10ELNS1_11target_archE1201ELNS1_3gpuE5ELNS1_3repE0EEENS1_30default_config_static_selectorELNS0_4arch9wavefront6targetE1EEEvSP_,comdat
.Lfunc_end6:
	.size	_ZN7rocprim17ROCPRIM_400000_NS6detail17trampoline_kernelINS0_14default_configENS1_21merge_config_selectorIiNS0_10empty_typeEEEZNS1_10merge_implIS3_N6thrust23THRUST_200600_302600_NS6detail15normal_iteratorINS9_10device_ptrIKiEEEESF_NSB_INSC_IiEEEEPS5_SI_SI_NS9_4lessIiEEEE10hipError_tPvRmT0_T1_T2_T3_T4_T5_mmT6_P12ihipStream_tbEUlT_E_NS1_11comp_targetILNS1_3genE10ELNS1_11target_archE1201ELNS1_3gpuE5ELNS1_3repE0EEENS1_30default_config_static_selectorELNS0_4arch9wavefront6targetE1EEEvSP_, .Lfunc_end6-_ZN7rocprim17ROCPRIM_400000_NS6detail17trampoline_kernelINS0_14default_configENS1_21merge_config_selectorIiNS0_10empty_typeEEEZNS1_10merge_implIS3_N6thrust23THRUST_200600_302600_NS6detail15normal_iteratorINS9_10device_ptrIKiEEEESF_NSB_INSC_IiEEEEPS5_SI_SI_NS9_4lessIiEEEE10hipError_tPvRmT0_T1_T2_T3_T4_T5_mmT6_P12ihipStream_tbEUlT_E_NS1_11comp_targetILNS1_3genE10ELNS1_11target_archE1201ELNS1_3gpuE5ELNS1_3repE0EEENS1_30default_config_static_selectorELNS0_4arch9wavefront6targetE1EEEvSP_
                                        ; -- End function
	.set _ZN7rocprim17ROCPRIM_400000_NS6detail17trampoline_kernelINS0_14default_configENS1_21merge_config_selectorIiNS0_10empty_typeEEEZNS1_10merge_implIS3_N6thrust23THRUST_200600_302600_NS6detail15normal_iteratorINS9_10device_ptrIKiEEEESF_NSB_INSC_IiEEEEPS5_SI_SI_NS9_4lessIiEEEE10hipError_tPvRmT0_T1_T2_T3_T4_T5_mmT6_P12ihipStream_tbEUlT_E_NS1_11comp_targetILNS1_3genE10ELNS1_11target_archE1201ELNS1_3gpuE5ELNS1_3repE0EEENS1_30default_config_static_selectorELNS0_4arch9wavefront6targetE1EEEvSP_.num_vgpr, 0
	.set _ZN7rocprim17ROCPRIM_400000_NS6detail17trampoline_kernelINS0_14default_configENS1_21merge_config_selectorIiNS0_10empty_typeEEEZNS1_10merge_implIS3_N6thrust23THRUST_200600_302600_NS6detail15normal_iteratorINS9_10device_ptrIKiEEEESF_NSB_INSC_IiEEEEPS5_SI_SI_NS9_4lessIiEEEE10hipError_tPvRmT0_T1_T2_T3_T4_T5_mmT6_P12ihipStream_tbEUlT_E_NS1_11comp_targetILNS1_3genE10ELNS1_11target_archE1201ELNS1_3gpuE5ELNS1_3repE0EEENS1_30default_config_static_selectorELNS0_4arch9wavefront6targetE1EEEvSP_.num_agpr, 0
	.set _ZN7rocprim17ROCPRIM_400000_NS6detail17trampoline_kernelINS0_14default_configENS1_21merge_config_selectorIiNS0_10empty_typeEEEZNS1_10merge_implIS3_N6thrust23THRUST_200600_302600_NS6detail15normal_iteratorINS9_10device_ptrIKiEEEESF_NSB_INSC_IiEEEEPS5_SI_SI_NS9_4lessIiEEEE10hipError_tPvRmT0_T1_T2_T3_T4_T5_mmT6_P12ihipStream_tbEUlT_E_NS1_11comp_targetILNS1_3genE10ELNS1_11target_archE1201ELNS1_3gpuE5ELNS1_3repE0EEENS1_30default_config_static_selectorELNS0_4arch9wavefront6targetE1EEEvSP_.numbered_sgpr, 0
	.set _ZN7rocprim17ROCPRIM_400000_NS6detail17trampoline_kernelINS0_14default_configENS1_21merge_config_selectorIiNS0_10empty_typeEEEZNS1_10merge_implIS3_N6thrust23THRUST_200600_302600_NS6detail15normal_iteratorINS9_10device_ptrIKiEEEESF_NSB_INSC_IiEEEEPS5_SI_SI_NS9_4lessIiEEEE10hipError_tPvRmT0_T1_T2_T3_T4_T5_mmT6_P12ihipStream_tbEUlT_E_NS1_11comp_targetILNS1_3genE10ELNS1_11target_archE1201ELNS1_3gpuE5ELNS1_3repE0EEENS1_30default_config_static_selectorELNS0_4arch9wavefront6targetE1EEEvSP_.num_named_barrier, 0
	.set _ZN7rocprim17ROCPRIM_400000_NS6detail17trampoline_kernelINS0_14default_configENS1_21merge_config_selectorIiNS0_10empty_typeEEEZNS1_10merge_implIS3_N6thrust23THRUST_200600_302600_NS6detail15normal_iteratorINS9_10device_ptrIKiEEEESF_NSB_INSC_IiEEEEPS5_SI_SI_NS9_4lessIiEEEE10hipError_tPvRmT0_T1_T2_T3_T4_T5_mmT6_P12ihipStream_tbEUlT_E_NS1_11comp_targetILNS1_3genE10ELNS1_11target_archE1201ELNS1_3gpuE5ELNS1_3repE0EEENS1_30default_config_static_selectorELNS0_4arch9wavefront6targetE1EEEvSP_.private_seg_size, 0
	.set _ZN7rocprim17ROCPRIM_400000_NS6detail17trampoline_kernelINS0_14default_configENS1_21merge_config_selectorIiNS0_10empty_typeEEEZNS1_10merge_implIS3_N6thrust23THRUST_200600_302600_NS6detail15normal_iteratorINS9_10device_ptrIKiEEEESF_NSB_INSC_IiEEEEPS5_SI_SI_NS9_4lessIiEEEE10hipError_tPvRmT0_T1_T2_T3_T4_T5_mmT6_P12ihipStream_tbEUlT_E_NS1_11comp_targetILNS1_3genE10ELNS1_11target_archE1201ELNS1_3gpuE5ELNS1_3repE0EEENS1_30default_config_static_selectorELNS0_4arch9wavefront6targetE1EEEvSP_.uses_vcc, 0
	.set _ZN7rocprim17ROCPRIM_400000_NS6detail17trampoline_kernelINS0_14default_configENS1_21merge_config_selectorIiNS0_10empty_typeEEEZNS1_10merge_implIS3_N6thrust23THRUST_200600_302600_NS6detail15normal_iteratorINS9_10device_ptrIKiEEEESF_NSB_INSC_IiEEEEPS5_SI_SI_NS9_4lessIiEEEE10hipError_tPvRmT0_T1_T2_T3_T4_T5_mmT6_P12ihipStream_tbEUlT_E_NS1_11comp_targetILNS1_3genE10ELNS1_11target_archE1201ELNS1_3gpuE5ELNS1_3repE0EEENS1_30default_config_static_selectorELNS0_4arch9wavefront6targetE1EEEvSP_.uses_flat_scratch, 0
	.set _ZN7rocprim17ROCPRIM_400000_NS6detail17trampoline_kernelINS0_14default_configENS1_21merge_config_selectorIiNS0_10empty_typeEEEZNS1_10merge_implIS3_N6thrust23THRUST_200600_302600_NS6detail15normal_iteratorINS9_10device_ptrIKiEEEESF_NSB_INSC_IiEEEEPS5_SI_SI_NS9_4lessIiEEEE10hipError_tPvRmT0_T1_T2_T3_T4_T5_mmT6_P12ihipStream_tbEUlT_E_NS1_11comp_targetILNS1_3genE10ELNS1_11target_archE1201ELNS1_3gpuE5ELNS1_3repE0EEENS1_30default_config_static_selectorELNS0_4arch9wavefront6targetE1EEEvSP_.has_dyn_sized_stack, 0
	.set _ZN7rocprim17ROCPRIM_400000_NS6detail17trampoline_kernelINS0_14default_configENS1_21merge_config_selectorIiNS0_10empty_typeEEEZNS1_10merge_implIS3_N6thrust23THRUST_200600_302600_NS6detail15normal_iteratorINS9_10device_ptrIKiEEEESF_NSB_INSC_IiEEEEPS5_SI_SI_NS9_4lessIiEEEE10hipError_tPvRmT0_T1_T2_T3_T4_T5_mmT6_P12ihipStream_tbEUlT_E_NS1_11comp_targetILNS1_3genE10ELNS1_11target_archE1201ELNS1_3gpuE5ELNS1_3repE0EEENS1_30default_config_static_selectorELNS0_4arch9wavefront6targetE1EEEvSP_.has_recursion, 0
	.set _ZN7rocprim17ROCPRIM_400000_NS6detail17trampoline_kernelINS0_14default_configENS1_21merge_config_selectorIiNS0_10empty_typeEEEZNS1_10merge_implIS3_N6thrust23THRUST_200600_302600_NS6detail15normal_iteratorINS9_10device_ptrIKiEEEESF_NSB_INSC_IiEEEEPS5_SI_SI_NS9_4lessIiEEEE10hipError_tPvRmT0_T1_T2_T3_T4_T5_mmT6_P12ihipStream_tbEUlT_E_NS1_11comp_targetILNS1_3genE10ELNS1_11target_archE1201ELNS1_3gpuE5ELNS1_3repE0EEENS1_30default_config_static_selectorELNS0_4arch9wavefront6targetE1EEEvSP_.has_indirect_call, 0
	.section	.AMDGPU.csdata,"",@progbits
; Kernel info:
; codeLenInByte = 0
; TotalNumSgprs: 4
; NumVgprs: 0
; ScratchSize: 0
; MemoryBound: 0
; FloatMode: 240
; IeeeMode: 1
; LDSByteSize: 0 bytes/workgroup (compile time only)
; SGPRBlocks: 0
; VGPRBlocks: 0
; NumSGPRsForWavesPerEU: 4
; NumVGPRsForWavesPerEU: 1
; Occupancy: 10
; WaveLimiterHint : 0
; COMPUTE_PGM_RSRC2:SCRATCH_EN: 0
; COMPUTE_PGM_RSRC2:USER_SGPR: 6
; COMPUTE_PGM_RSRC2:TRAP_HANDLER: 0
; COMPUTE_PGM_RSRC2:TGID_X_EN: 1
; COMPUTE_PGM_RSRC2:TGID_Y_EN: 0
; COMPUTE_PGM_RSRC2:TGID_Z_EN: 0
; COMPUTE_PGM_RSRC2:TIDIG_COMP_CNT: 0
	.section	.text._ZN7rocprim17ROCPRIM_400000_NS6detail17trampoline_kernelINS0_14default_configENS1_21merge_config_selectorIiNS0_10empty_typeEEEZNS1_10merge_implIS3_N6thrust23THRUST_200600_302600_NS6detail15normal_iteratorINS9_10device_ptrIKiEEEESF_NSB_INSC_IiEEEEPS5_SI_SI_NS9_4lessIiEEEE10hipError_tPvRmT0_T1_T2_T3_T4_T5_mmT6_P12ihipStream_tbEUlT_E_NS1_11comp_targetILNS1_3genE10ELNS1_11target_archE1200ELNS1_3gpuE4ELNS1_3repE0EEENS1_30default_config_static_selectorELNS0_4arch9wavefront6targetE1EEEvSP_,"axG",@progbits,_ZN7rocprim17ROCPRIM_400000_NS6detail17trampoline_kernelINS0_14default_configENS1_21merge_config_selectorIiNS0_10empty_typeEEEZNS1_10merge_implIS3_N6thrust23THRUST_200600_302600_NS6detail15normal_iteratorINS9_10device_ptrIKiEEEESF_NSB_INSC_IiEEEEPS5_SI_SI_NS9_4lessIiEEEE10hipError_tPvRmT0_T1_T2_T3_T4_T5_mmT6_P12ihipStream_tbEUlT_E_NS1_11comp_targetILNS1_3genE10ELNS1_11target_archE1200ELNS1_3gpuE4ELNS1_3repE0EEENS1_30default_config_static_selectorELNS0_4arch9wavefront6targetE1EEEvSP_,comdat
	.protected	_ZN7rocprim17ROCPRIM_400000_NS6detail17trampoline_kernelINS0_14default_configENS1_21merge_config_selectorIiNS0_10empty_typeEEEZNS1_10merge_implIS3_N6thrust23THRUST_200600_302600_NS6detail15normal_iteratorINS9_10device_ptrIKiEEEESF_NSB_INSC_IiEEEEPS5_SI_SI_NS9_4lessIiEEEE10hipError_tPvRmT0_T1_T2_T3_T4_T5_mmT6_P12ihipStream_tbEUlT_E_NS1_11comp_targetILNS1_3genE10ELNS1_11target_archE1200ELNS1_3gpuE4ELNS1_3repE0EEENS1_30default_config_static_selectorELNS0_4arch9wavefront6targetE1EEEvSP_ ; -- Begin function _ZN7rocprim17ROCPRIM_400000_NS6detail17trampoline_kernelINS0_14default_configENS1_21merge_config_selectorIiNS0_10empty_typeEEEZNS1_10merge_implIS3_N6thrust23THRUST_200600_302600_NS6detail15normal_iteratorINS9_10device_ptrIKiEEEESF_NSB_INSC_IiEEEEPS5_SI_SI_NS9_4lessIiEEEE10hipError_tPvRmT0_T1_T2_T3_T4_T5_mmT6_P12ihipStream_tbEUlT_E_NS1_11comp_targetILNS1_3genE10ELNS1_11target_archE1200ELNS1_3gpuE4ELNS1_3repE0EEENS1_30default_config_static_selectorELNS0_4arch9wavefront6targetE1EEEvSP_
	.globl	_ZN7rocprim17ROCPRIM_400000_NS6detail17trampoline_kernelINS0_14default_configENS1_21merge_config_selectorIiNS0_10empty_typeEEEZNS1_10merge_implIS3_N6thrust23THRUST_200600_302600_NS6detail15normal_iteratorINS9_10device_ptrIKiEEEESF_NSB_INSC_IiEEEEPS5_SI_SI_NS9_4lessIiEEEE10hipError_tPvRmT0_T1_T2_T3_T4_T5_mmT6_P12ihipStream_tbEUlT_E_NS1_11comp_targetILNS1_3genE10ELNS1_11target_archE1200ELNS1_3gpuE4ELNS1_3repE0EEENS1_30default_config_static_selectorELNS0_4arch9wavefront6targetE1EEEvSP_
	.p2align	8
	.type	_ZN7rocprim17ROCPRIM_400000_NS6detail17trampoline_kernelINS0_14default_configENS1_21merge_config_selectorIiNS0_10empty_typeEEEZNS1_10merge_implIS3_N6thrust23THRUST_200600_302600_NS6detail15normal_iteratorINS9_10device_ptrIKiEEEESF_NSB_INSC_IiEEEEPS5_SI_SI_NS9_4lessIiEEEE10hipError_tPvRmT0_T1_T2_T3_T4_T5_mmT6_P12ihipStream_tbEUlT_E_NS1_11comp_targetILNS1_3genE10ELNS1_11target_archE1200ELNS1_3gpuE4ELNS1_3repE0EEENS1_30default_config_static_selectorELNS0_4arch9wavefront6targetE1EEEvSP_,@function
_ZN7rocprim17ROCPRIM_400000_NS6detail17trampoline_kernelINS0_14default_configENS1_21merge_config_selectorIiNS0_10empty_typeEEEZNS1_10merge_implIS3_N6thrust23THRUST_200600_302600_NS6detail15normal_iteratorINS9_10device_ptrIKiEEEESF_NSB_INSC_IiEEEEPS5_SI_SI_NS9_4lessIiEEEE10hipError_tPvRmT0_T1_T2_T3_T4_T5_mmT6_P12ihipStream_tbEUlT_E_NS1_11comp_targetILNS1_3genE10ELNS1_11target_archE1200ELNS1_3gpuE4ELNS1_3repE0EEENS1_30default_config_static_selectorELNS0_4arch9wavefront6targetE1EEEvSP_: ; @_ZN7rocprim17ROCPRIM_400000_NS6detail17trampoline_kernelINS0_14default_configENS1_21merge_config_selectorIiNS0_10empty_typeEEEZNS1_10merge_implIS3_N6thrust23THRUST_200600_302600_NS6detail15normal_iteratorINS9_10device_ptrIKiEEEESF_NSB_INSC_IiEEEEPS5_SI_SI_NS9_4lessIiEEEE10hipError_tPvRmT0_T1_T2_T3_T4_T5_mmT6_P12ihipStream_tbEUlT_E_NS1_11comp_targetILNS1_3genE10ELNS1_11target_archE1200ELNS1_3gpuE4ELNS1_3repE0EEENS1_30default_config_static_selectorELNS0_4arch9wavefront6targetE1EEEvSP_
; %bb.0:
	.section	.rodata,"a",@progbits
	.p2align	6, 0x0
	.amdhsa_kernel _ZN7rocprim17ROCPRIM_400000_NS6detail17trampoline_kernelINS0_14default_configENS1_21merge_config_selectorIiNS0_10empty_typeEEEZNS1_10merge_implIS3_N6thrust23THRUST_200600_302600_NS6detail15normal_iteratorINS9_10device_ptrIKiEEEESF_NSB_INSC_IiEEEEPS5_SI_SI_NS9_4lessIiEEEE10hipError_tPvRmT0_T1_T2_T3_T4_T5_mmT6_P12ihipStream_tbEUlT_E_NS1_11comp_targetILNS1_3genE10ELNS1_11target_archE1200ELNS1_3gpuE4ELNS1_3repE0EEENS1_30default_config_static_selectorELNS0_4arch9wavefront6targetE1EEEvSP_
		.amdhsa_group_segment_fixed_size 0
		.amdhsa_private_segment_fixed_size 0
		.amdhsa_kernarg_size 48
		.amdhsa_user_sgpr_count 6
		.amdhsa_user_sgpr_private_segment_buffer 1
		.amdhsa_user_sgpr_dispatch_ptr 0
		.amdhsa_user_sgpr_queue_ptr 0
		.amdhsa_user_sgpr_kernarg_segment_ptr 1
		.amdhsa_user_sgpr_dispatch_id 0
		.amdhsa_user_sgpr_flat_scratch_init 0
		.amdhsa_user_sgpr_private_segment_size 0
		.amdhsa_uses_dynamic_stack 0
		.amdhsa_system_sgpr_private_segment_wavefront_offset 0
		.amdhsa_system_sgpr_workgroup_id_x 1
		.amdhsa_system_sgpr_workgroup_id_y 0
		.amdhsa_system_sgpr_workgroup_id_z 0
		.amdhsa_system_sgpr_workgroup_info 0
		.amdhsa_system_vgpr_workitem_id 0
		.amdhsa_next_free_vgpr 1
		.amdhsa_next_free_sgpr 0
		.amdhsa_reserve_vcc 0
		.amdhsa_reserve_flat_scratch 0
		.amdhsa_float_round_mode_32 0
		.amdhsa_float_round_mode_16_64 0
		.amdhsa_float_denorm_mode_32 3
		.amdhsa_float_denorm_mode_16_64 3
		.amdhsa_dx10_clamp 1
		.amdhsa_ieee_mode 1
		.amdhsa_fp16_overflow 0
		.amdhsa_exception_fp_ieee_invalid_op 0
		.amdhsa_exception_fp_denorm_src 0
		.amdhsa_exception_fp_ieee_div_zero 0
		.amdhsa_exception_fp_ieee_overflow 0
		.amdhsa_exception_fp_ieee_underflow 0
		.amdhsa_exception_fp_ieee_inexact 0
		.amdhsa_exception_int_div_zero 0
	.end_amdhsa_kernel
	.section	.text._ZN7rocprim17ROCPRIM_400000_NS6detail17trampoline_kernelINS0_14default_configENS1_21merge_config_selectorIiNS0_10empty_typeEEEZNS1_10merge_implIS3_N6thrust23THRUST_200600_302600_NS6detail15normal_iteratorINS9_10device_ptrIKiEEEESF_NSB_INSC_IiEEEEPS5_SI_SI_NS9_4lessIiEEEE10hipError_tPvRmT0_T1_T2_T3_T4_T5_mmT6_P12ihipStream_tbEUlT_E_NS1_11comp_targetILNS1_3genE10ELNS1_11target_archE1200ELNS1_3gpuE4ELNS1_3repE0EEENS1_30default_config_static_selectorELNS0_4arch9wavefront6targetE1EEEvSP_,"axG",@progbits,_ZN7rocprim17ROCPRIM_400000_NS6detail17trampoline_kernelINS0_14default_configENS1_21merge_config_selectorIiNS0_10empty_typeEEEZNS1_10merge_implIS3_N6thrust23THRUST_200600_302600_NS6detail15normal_iteratorINS9_10device_ptrIKiEEEESF_NSB_INSC_IiEEEEPS5_SI_SI_NS9_4lessIiEEEE10hipError_tPvRmT0_T1_T2_T3_T4_T5_mmT6_P12ihipStream_tbEUlT_E_NS1_11comp_targetILNS1_3genE10ELNS1_11target_archE1200ELNS1_3gpuE4ELNS1_3repE0EEENS1_30default_config_static_selectorELNS0_4arch9wavefront6targetE1EEEvSP_,comdat
.Lfunc_end7:
	.size	_ZN7rocprim17ROCPRIM_400000_NS6detail17trampoline_kernelINS0_14default_configENS1_21merge_config_selectorIiNS0_10empty_typeEEEZNS1_10merge_implIS3_N6thrust23THRUST_200600_302600_NS6detail15normal_iteratorINS9_10device_ptrIKiEEEESF_NSB_INSC_IiEEEEPS5_SI_SI_NS9_4lessIiEEEE10hipError_tPvRmT0_T1_T2_T3_T4_T5_mmT6_P12ihipStream_tbEUlT_E_NS1_11comp_targetILNS1_3genE10ELNS1_11target_archE1200ELNS1_3gpuE4ELNS1_3repE0EEENS1_30default_config_static_selectorELNS0_4arch9wavefront6targetE1EEEvSP_, .Lfunc_end7-_ZN7rocprim17ROCPRIM_400000_NS6detail17trampoline_kernelINS0_14default_configENS1_21merge_config_selectorIiNS0_10empty_typeEEEZNS1_10merge_implIS3_N6thrust23THRUST_200600_302600_NS6detail15normal_iteratorINS9_10device_ptrIKiEEEESF_NSB_INSC_IiEEEEPS5_SI_SI_NS9_4lessIiEEEE10hipError_tPvRmT0_T1_T2_T3_T4_T5_mmT6_P12ihipStream_tbEUlT_E_NS1_11comp_targetILNS1_3genE10ELNS1_11target_archE1200ELNS1_3gpuE4ELNS1_3repE0EEENS1_30default_config_static_selectorELNS0_4arch9wavefront6targetE1EEEvSP_
                                        ; -- End function
	.set _ZN7rocprim17ROCPRIM_400000_NS6detail17trampoline_kernelINS0_14default_configENS1_21merge_config_selectorIiNS0_10empty_typeEEEZNS1_10merge_implIS3_N6thrust23THRUST_200600_302600_NS6detail15normal_iteratorINS9_10device_ptrIKiEEEESF_NSB_INSC_IiEEEEPS5_SI_SI_NS9_4lessIiEEEE10hipError_tPvRmT0_T1_T2_T3_T4_T5_mmT6_P12ihipStream_tbEUlT_E_NS1_11comp_targetILNS1_3genE10ELNS1_11target_archE1200ELNS1_3gpuE4ELNS1_3repE0EEENS1_30default_config_static_selectorELNS0_4arch9wavefront6targetE1EEEvSP_.num_vgpr, 0
	.set _ZN7rocprim17ROCPRIM_400000_NS6detail17trampoline_kernelINS0_14default_configENS1_21merge_config_selectorIiNS0_10empty_typeEEEZNS1_10merge_implIS3_N6thrust23THRUST_200600_302600_NS6detail15normal_iteratorINS9_10device_ptrIKiEEEESF_NSB_INSC_IiEEEEPS5_SI_SI_NS9_4lessIiEEEE10hipError_tPvRmT0_T1_T2_T3_T4_T5_mmT6_P12ihipStream_tbEUlT_E_NS1_11comp_targetILNS1_3genE10ELNS1_11target_archE1200ELNS1_3gpuE4ELNS1_3repE0EEENS1_30default_config_static_selectorELNS0_4arch9wavefront6targetE1EEEvSP_.num_agpr, 0
	.set _ZN7rocprim17ROCPRIM_400000_NS6detail17trampoline_kernelINS0_14default_configENS1_21merge_config_selectorIiNS0_10empty_typeEEEZNS1_10merge_implIS3_N6thrust23THRUST_200600_302600_NS6detail15normal_iteratorINS9_10device_ptrIKiEEEESF_NSB_INSC_IiEEEEPS5_SI_SI_NS9_4lessIiEEEE10hipError_tPvRmT0_T1_T2_T3_T4_T5_mmT6_P12ihipStream_tbEUlT_E_NS1_11comp_targetILNS1_3genE10ELNS1_11target_archE1200ELNS1_3gpuE4ELNS1_3repE0EEENS1_30default_config_static_selectorELNS0_4arch9wavefront6targetE1EEEvSP_.numbered_sgpr, 0
	.set _ZN7rocprim17ROCPRIM_400000_NS6detail17trampoline_kernelINS0_14default_configENS1_21merge_config_selectorIiNS0_10empty_typeEEEZNS1_10merge_implIS3_N6thrust23THRUST_200600_302600_NS6detail15normal_iteratorINS9_10device_ptrIKiEEEESF_NSB_INSC_IiEEEEPS5_SI_SI_NS9_4lessIiEEEE10hipError_tPvRmT0_T1_T2_T3_T4_T5_mmT6_P12ihipStream_tbEUlT_E_NS1_11comp_targetILNS1_3genE10ELNS1_11target_archE1200ELNS1_3gpuE4ELNS1_3repE0EEENS1_30default_config_static_selectorELNS0_4arch9wavefront6targetE1EEEvSP_.num_named_barrier, 0
	.set _ZN7rocprim17ROCPRIM_400000_NS6detail17trampoline_kernelINS0_14default_configENS1_21merge_config_selectorIiNS0_10empty_typeEEEZNS1_10merge_implIS3_N6thrust23THRUST_200600_302600_NS6detail15normal_iteratorINS9_10device_ptrIKiEEEESF_NSB_INSC_IiEEEEPS5_SI_SI_NS9_4lessIiEEEE10hipError_tPvRmT0_T1_T2_T3_T4_T5_mmT6_P12ihipStream_tbEUlT_E_NS1_11comp_targetILNS1_3genE10ELNS1_11target_archE1200ELNS1_3gpuE4ELNS1_3repE0EEENS1_30default_config_static_selectorELNS0_4arch9wavefront6targetE1EEEvSP_.private_seg_size, 0
	.set _ZN7rocprim17ROCPRIM_400000_NS6detail17trampoline_kernelINS0_14default_configENS1_21merge_config_selectorIiNS0_10empty_typeEEEZNS1_10merge_implIS3_N6thrust23THRUST_200600_302600_NS6detail15normal_iteratorINS9_10device_ptrIKiEEEESF_NSB_INSC_IiEEEEPS5_SI_SI_NS9_4lessIiEEEE10hipError_tPvRmT0_T1_T2_T3_T4_T5_mmT6_P12ihipStream_tbEUlT_E_NS1_11comp_targetILNS1_3genE10ELNS1_11target_archE1200ELNS1_3gpuE4ELNS1_3repE0EEENS1_30default_config_static_selectorELNS0_4arch9wavefront6targetE1EEEvSP_.uses_vcc, 0
	.set _ZN7rocprim17ROCPRIM_400000_NS6detail17trampoline_kernelINS0_14default_configENS1_21merge_config_selectorIiNS0_10empty_typeEEEZNS1_10merge_implIS3_N6thrust23THRUST_200600_302600_NS6detail15normal_iteratorINS9_10device_ptrIKiEEEESF_NSB_INSC_IiEEEEPS5_SI_SI_NS9_4lessIiEEEE10hipError_tPvRmT0_T1_T2_T3_T4_T5_mmT6_P12ihipStream_tbEUlT_E_NS1_11comp_targetILNS1_3genE10ELNS1_11target_archE1200ELNS1_3gpuE4ELNS1_3repE0EEENS1_30default_config_static_selectorELNS0_4arch9wavefront6targetE1EEEvSP_.uses_flat_scratch, 0
	.set _ZN7rocprim17ROCPRIM_400000_NS6detail17trampoline_kernelINS0_14default_configENS1_21merge_config_selectorIiNS0_10empty_typeEEEZNS1_10merge_implIS3_N6thrust23THRUST_200600_302600_NS6detail15normal_iteratorINS9_10device_ptrIKiEEEESF_NSB_INSC_IiEEEEPS5_SI_SI_NS9_4lessIiEEEE10hipError_tPvRmT0_T1_T2_T3_T4_T5_mmT6_P12ihipStream_tbEUlT_E_NS1_11comp_targetILNS1_3genE10ELNS1_11target_archE1200ELNS1_3gpuE4ELNS1_3repE0EEENS1_30default_config_static_selectorELNS0_4arch9wavefront6targetE1EEEvSP_.has_dyn_sized_stack, 0
	.set _ZN7rocprim17ROCPRIM_400000_NS6detail17trampoline_kernelINS0_14default_configENS1_21merge_config_selectorIiNS0_10empty_typeEEEZNS1_10merge_implIS3_N6thrust23THRUST_200600_302600_NS6detail15normal_iteratorINS9_10device_ptrIKiEEEESF_NSB_INSC_IiEEEEPS5_SI_SI_NS9_4lessIiEEEE10hipError_tPvRmT0_T1_T2_T3_T4_T5_mmT6_P12ihipStream_tbEUlT_E_NS1_11comp_targetILNS1_3genE10ELNS1_11target_archE1200ELNS1_3gpuE4ELNS1_3repE0EEENS1_30default_config_static_selectorELNS0_4arch9wavefront6targetE1EEEvSP_.has_recursion, 0
	.set _ZN7rocprim17ROCPRIM_400000_NS6detail17trampoline_kernelINS0_14default_configENS1_21merge_config_selectorIiNS0_10empty_typeEEEZNS1_10merge_implIS3_N6thrust23THRUST_200600_302600_NS6detail15normal_iteratorINS9_10device_ptrIKiEEEESF_NSB_INSC_IiEEEEPS5_SI_SI_NS9_4lessIiEEEE10hipError_tPvRmT0_T1_T2_T3_T4_T5_mmT6_P12ihipStream_tbEUlT_E_NS1_11comp_targetILNS1_3genE10ELNS1_11target_archE1200ELNS1_3gpuE4ELNS1_3repE0EEENS1_30default_config_static_selectorELNS0_4arch9wavefront6targetE1EEEvSP_.has_indirect_call, 0
	.section	.AMDGPU.csdata,"",@progbits
; Kernel info:
; codeLenInByte = 0
; TotalNumSgprs: 4
; NumVgprs: 0
; ScratchSize: 0
; MemoryBound: 0
; FloatMode: 240
; IeeeMode: 1
; LDSByteSize: 0 bytes/workgroup (compile time only)
; SGPRBlocks: 0
; VGPRBlocks: 0
; NumSGPRsForWavesPerEU: 4
; NumVGPRsForWavesPerEU: 1
; Occupancy: 10
; WaveLimiterHint : 0
; COMPUTE_PGM_RSRC2:SCRATCH_EN: 0
; COMPUTE_PGM_RSRC2:USER_SGPR: 6
; COMPUTE_PGM_RSRC2:TRAP_HANDLER: 0
; COMPUTE_PGM_RSRC2:TGID_X_EN: 1
; COMPUTE_PGM_RSRC2:TGID_Y_EN: 0
; COMPUTE_PGM_RSRC2:TGID_Z_EN: 0
; COMPUTE_PGM_RSRC2:TIDIG_COMP_CNT: 0
	.section	.text._ZN7rocprim17ROCPRIM_400000_NS6detail17trampoline_kernelINS0_14default_configENS1_21merge_config_selectorIiNS0_10empty_typeEEEZNS1_10merge_implIS3_N6thrust23THRUST_200600_302600_NS6detail15normal_iteratorINS9_10device_ptrIKiEEEESF_NSB_INSC_IiEEEEPS5_SI_SI_NS9_4lessIiEEEE10hipError_tPvRmT0_T1_T2_T3_T4_T5_mmT6_P12ihipStream_tbEUlT_E_NS1_11comp_targetILNS1_3genE9ELNS1_11target_archE1100ELNS1_3gpuE3ELNS1_3repE0EEENS1_30default_config_static_selectorELNS0_4arch9wavefront6targetE1EEEvSP_,"axG",@progbits,_ZN7rocprim17ROCPRIM_400000_NS6detail17trampoline_kernelINS0_14default_configENS1_21merge_config_selectorIiNS0_10empty_typeEEEZNS1_10merge_implIS3_N6thrust23THRUST_200600_302600_NS6detail15normal_iteratorINS9_10device_ptrIKiEEEESF_NSB_INSC_IiEEEEPS5_SI_SI_NS9_4lessIiEEEE10hipError_tPvRmT0_T1_T2_T3_T4_T5_mmT6_P12ihipStream_tbEUlT_E_NS1_11comp_targetILNS1_3genE9ELNS1_11target_archE1100ELNS1_3gpuE3ELNS1_3repE0EEENS1_30default_config_static_selectorELNS0_4arch9wavefront6targetE1EEEvSP_,comdat
	.protected	_ZN7rocprim17ROCPRIM_400000_NS6detail17trampoline_kernelINS0_14default_configENS1_21merge_config_selectorIiNS0_10empty_typeEEEZNS1_10merge_implIS3_N6thrust23THRUST_200600_302600_NS6detail15normal_iteratorINS9_10device_ptrIKiEEEESF_NSB_INSC_IiEEEEPS5_SI_SI_NS9_4lessIiEEEE10hipError_tPvRmT0_T1_T2_T3_T4_T5_mmT6_P12ihipStream_tbEUlT_E_NS1_11comp_targetILNS1_3genE9ELNS1_11target_archE1100ELNS1_3gpuE3ELNS1_3repE0EEENS1_30default_config_static_selectorELNS0_4arch9wavefront6targetE1EEEvSP_ ; -- Begin function _ZN7rocprim17ROCPRIM_400000_NS6detail17trampoline_kernelINS0_14default_configENS1_21merge_config_selectorIiNS0_10empty_typeEEEZNS1_10merge_implIS3_N6thrust23THRUST_200600_302600_NS6detail15normal_iteratorINS9_10device_ptrIKiEEEESF_NSB_INSC_IiEEEEPS5_SI_SI_NS9_4lessIiEEEE10hipError_tPvRmT0_T1_T2_T3_T4_T5_mmT6_P12ihipStream_tbEUlT_E_NS1_11comp_targetILNS1_3genE9ELNS1_11target_archE1100ELNS1_3gpuE3ELNS1_3repE0EEENS1_30default_config_static_selectorELNS0_4arch9wavefront6targetE1EEEvSP_
	.globl	_ZN7rocprim17ROCPRIM_400000_NS6detail17trampoline_kernelINS0_14default_configENS1_21merge_config_selectorIiNS0_10empty_typeEEEZNS1_10merge_implIS3_N6thrust23THRUST_200600_302600_NS6detail15normal_iteratorINS9_10device_ptrIKiEEEESF_NSB_INSC_IiEEEEPS5_SI_SI_NS9_4lessIiEEEE10hipError_tPvRmT0_T1_T2_T3_T4_T5_mmT6_P12ihipStream_tbEUlT_E_NS1_11comp_targetILNS1_3genE9ELNS1_11target_archE1100ELNS1_3gpuE3ELNS1_3repE0EEENS1_30default_config_static_selectorELNS0_4arch9wavefront6targetE1EEEvSP_
	.p2align	8
	.type	_ZN7rocprim17ROCPRIM_400000_NS6detail17trampoline_kernelINS0_14default_configENS1_21merge_config_selectorIiNS0_10empty_typeEEEZNS1_10merge_implIS3_N6thrust23THRUST_200600_302600_NS6detail15normal_iteratorINS9_10device_ptrIKiEEEESF_NSB_INSC_IiEEEEPS5_SI_SI_NS9_4lessIiEEEE10hipError_tPvRmT0_T1_T2_T3_T4_T5_mmT6_P12ihipStream_tbEUlT_E_NS1_11comp_targetILNS1_3genE9ELNS1_11target_archE1100ELNS1_3gpuE3ELNS1_3repE0EEENS1_30default_config_static_selectorELNS0_4arch9wavefront6targetE1EEEvSP_,@function
_ZN7rocprim17ROCPRIM_400000_NS6detail17trampoline_kernelINS0_14default_configENS1_21merge_config_selectorIiNS0_10empty_typeEEEZNS1_10merge_implIS3_N6thrust23THRUST_200600_302600_NS6detail15normal_iteratorINS9_10device_ptrIKiEEEESF_NSB_INSC_IiEEEEPS5_SI_SI_NS9_4lessIiEEEE10hipError_tPvRmT0_T1_T2_T3_T4_T5_mmT6_P12ihipStream_tbEUlT_E_NS1_11comp_targetILNS1_3genE9ELNS1_11target_archE1100ELNS1_3gpuE3ELNS1_3repE0EEENS1_30default_config_static_selectorELNS0_4arch9wavefront6targetE1EEEvSP_: ; @_ZN7rocprim17ROCPRIM_400000_NS6detail17trampoline_kernelINS0_14default_configENS1_21merge_config_selectorIiNS0_10empty_typeEEEZNS1_10merge_implIS3_N6thrust23THRUST_200600_302600_NS6detail15normal_iteratorINS9_10device_ptrIKiEEEESF_NSB_INSC_IiEEEEPS5_SI_SI_NS9_4lessIiEEEE10hipError_tPvRmT0_T1_T2_T3_T4_T5_mmT6_P12ihipStream_tbEUlT_E_NS1_11comp_targetILNS1_3genE9ELNS1_11target_archE1100ELNS1_3gpuE3ELNS1_3repE0EEENS1_30default_config_static_selectorELNS0_4arch9wavefront6targetE1EEEvSP_
; %bb.0:
	.section	.rodata,"a",@progbits
	.p2align	6, 0x0
	.amdhsa_kernel _ZN7rocprim17ROCPRIM_400000_NS6detail17trampoline_kernelINS0_14default_configENS1_21merge_config_selectorIiNS0_10empty_typeEEEZNS1_10merge_implIS3_N6thrust23THRUST_200600_302600_NS6detail15normal_iteratorINS9_10device_ptrIKiEEEESF_NSB_INSC_IiEEEEPS5_SI_SI_NS9_4lessIiEEEE10hipError_tPvRmT0_T1_T2_T3_T4_T5_mmT6_P12ihipStream_tbEUlT_E_NS1_11comp_targetILNS1_3genE9ELNS1_11target_archE1100ELNS1_3gpuE3ELNS1_3repE0EEENS1_30default_config_static_selectorELNS0_4arch9wavefront6targetE1EEEvSP_
		.amdhsa_group_segment_fixed_size 0
		.amdhsa_private_segment_fixed_size 0
		.amdhsa_kernarg_size 48
		.amdhsa_user_sgpr_count 6
		.amdhsa_user_sgpr_private_segment_buffer 1
		.amdhsa_user_sgpr_dispatch_ptr 0
		.amdhsa_user_sgpr_queue_ptr 0
		.amdhsa_user_sgpr_kernarg_segment_ptr 1
		.amdhsa_user_sgpr_dispatch_id 0
		.amdhsa_user_sgpr_flat_scratch_init 0
		.amdhsa_user_sgpr_private_segment_size 0
		.amdhsa_uses_dynamic_stack 0
		.amdhsa_system_sgpr_private_segment_wavefront_offset 0
		.amdhsa_system_sgpr_workgroup_id_x 1
		.amdhsa_system_sgpr_workgroup_id_y 0
		.amdhsa_system_sgpr_workgroup_id_z 0
		.amdhsa_system_sgpr_workgroup_info 0
		.amdhsa_system_vgpr_workitem_id 0
		.amdhsa_next_free_vgpr 1
		.amdhsa_next_free_sgpr 0
		.amdhsa_reserve_vcc 0
		.amdhsa_reserve_flat_scratch 0
		.amdhsa_float_round_mode_32 0
		.amdhsa_float_round_mode_16_64 0
		.amdhsa_float_denorm_mode_32 3
		.amdhsa_float_denorm_mode_16_64 3
		.amdhsa_dx10_clamp 1
		.amdhsa_ieee_mode 1
		.amdhsa_fp16_overflow 0
		.amdhsa_exception_fp_ieee_invalid_op 0
		.amdhsa_exception_fp_denorm_src 0
		.amdhsa_exception_fp_ieee_div_zero 0
		.amdhsa_exception_fp_ieee_overflow 0
		.amdhsa_exception_fp_ieee_underflow 0
		.amdhsa_exception_fp_ieee_inexact 0
		.amdhsa_exception_int_div_zero 0
	.end_amdhsa_kernel
	.section	.text._ZN7rocprim17ROCPRIM_400000_NS6detail17trampoline_kernelINS0_14default_configENS1_21merge_config_selectorIiNS0_10empty_typeEEEZNS1_10merge_implIS3_N6thrust23THRUST_200600_302600_NS6detail15normal_iteratorINS9_10device_ptrIKiEEEESF_NSB_INSC_IiEEEEPS5_SI_SI_NS9_4lessIiEEEE10hipError_tPvRmT0_T1_T2_T3_T4_T5_mmT6_P12ihipStream_tbEUlT_E_NS1_11comp_targetILNS1_3genE9ELNS1_11target_archE1100ELNS1_3gpuE3ELNS1_3repE0EEENS1_30default_config_static_selectorELNS0_4arch9wavefront6targetE1EEEvSP_,"axG",@progbits,_ZN7rocprim17ROCPRIM_400000_NS6detail17trampoline_kernelINS0_14default_configENS1_21merge_config_selectorIiNS0_10empty_typeEEEZNS1_10merge_implIS3_N6thrust23THRUST_200600_302600_NS6detail15normal_iteratorINS9_10device_ptrIKiEEEESF_NSB_INSC_IiEEEEPS5_SI_SI_NS9_4lessIiEEEE10hipError_tPvRmT0_T1_T2_T3_T4_T5_mmT6_P12ihipStream_tbEUlT_E_NS1_11comp_targetILNS1_3genE9ELNS1_11target_archE1100ELNS1_3gpuE3ELNS1_3repE0EEENS1_30default_config_static_selectorELNS0_4arch9wavefront6targetE1EEEvSP_,comdat
.Lfunc_end8:
	.size	_ZN7rocprim17ROCPRIM_400000_NS6detail17trampoline_kernelINS0_14default_configENS1_21merge_config_selectorIiNS0_10empty_typeEEEZNS1_10merge_implIS3_N6thrust23THRUST_200600_302600_NS6detail15normal_iteratorINS9_10device_ptrIKiEEEESF_NSB_INSC_IiEEEEPS5_SI_SI_NS9_4lessIiEEEE10hipError_tPvRmT0_T1_T2_T3_T4_T5_mmT6_P12ihipStream_tbEUlT_E_NS1_11comp_targetILNS1_3genE9ELNS1_11target_archE1100ELNS1_3gpuE3ELNS1_3repE0EEENS1_30default_config_static_selectorELNS0_4arch9wavefront6targetE1EEEvSP_, .Lfunc_end8-_ZN7rocprim17ROCPRIM_400000_NS6detail17trampoline_kernelINS0_14default_configENS1_21merge_config_selectorIiNS0_10empty_typeEEEZNS1_10merge_implIS3_N6thrust23THRUST_200600_302600_NS6detail15normal_iteratorINS9_10device_ptrIKiEEEESF_NSB_INSC_IiEEEEPS5_SI_SI_NS9_4lessIiEEEE10hipError_tPvRmT0_T1_T2_T3_T4_T5_mmT6_P12ihipStream_tbEUlT_E_NS1_11comp_targetILNS1_3genE9ELNS1_11target_archE1100ELNS1_3gpuE3ELNS1_3repE0EEENS1_30default_config_static_selectorELNS0_4arch9wavefront6targetE1EEEvSP_
                                        ; -- End function
	.set _ZN7rocprim17ROCPRIM_400000_NS6detail17trampoline_kernelINS0_14default_configENS1_21merge_config_selectorIiNS0_10empty_typeEEEZNS1_10merge_implIS3_N6thrust23THRUST_200600_302600_NS6detail15normal_iteratorINS9_10device_ptrIKiEEEESF_NSB_INSC_IiEEEEPS5_SI_SI_NS9_4lessIiEEEE10hipError_tPvRmT0_T1_T2_T3_T4_T5_mmT6_P12ihipStream_tbEUlT_E_NS1_11comp_targetILNS1_3genE9ELNS1_11target_archE1100ELNS1_3gpuE3ELNS1_3repE0EEENS1_30default_config_static_selectorELNS0_4arch9wavefront6targetE1EEEvSP_.num_vgpr, 0
	.set _ZN7rocprim17ROCPRIM_400000_NS6detail17trampoline_kernelINS0_14default_configENS1_21merge_config_selectorIiNS0_10empty_typeEEEZNS1_10merge_implIS3_N6thrust23THRUST_200600_302600_NS6detail15normal_iteratorINS9_10device_ptrIKiEEEESF_NSB_INSC_IiEEEEPS5_SI_SI_NS9_4lessIiEEEE10hipError_tPvRmT0_T1_T2_T3_T4_T5_mmT6_P12ihipStream_tbEUlT_E_NS1_11comp_targetILNS1_3genE9ELNS1_11target_archE1100ELNS1_3gpuE3ELNS1_3repE0EEENS1_30default_config_static_selectorELNS0_4arch9wavefront6targetE1EEEvSP_.num_agpr, 0
	.set _ZN7rocprim17ROCPRIM_400000_NS6detail17trampoline_kernelINS0_14default_configENS1_21merge_config_selectorIiNS0_10empty_typeEEEZNS1_10merge_implIS3_N6thrust23THRUST_200600_302600_NS6detail15normal_iteratorINS9_10device_ptrIKiEEEESF_NSB_INSC_IiEEEEPS5_SI_SI_NS9_4lessIiEEEE10hipError_tPvRmT0_T1_T2_T3_T4_T5_mmT6_P12ihipStream_tbEUlT_E_NS1_11comp_targetILNS1_3genE9ELNS1_11target_archE1100ELNS1_3gpuE3ELNS1_3repE0EEENS1_30default_config_static_selectorELNS0_4arch9wavefront6targetE1EEEvSP_.numbered_sgpr, 0
	.set _ZN7rocprim17ROCPRIM_400000_NS6detail17trampoline_kernelINS0_14default_configENS1_21merge_config_selectorIiNS0_10empty_typeEEEZNS1_10merge_implIS3_N6thrust23THRUST_200600_302600_NS6detail15normal_iteratorINS9_10device_ptrIKiEEEESF_NSB_INSC_IiEEEEPS5_SI_SI_NS9_4lessIiEEEE10hipError_tPvRmT0_T1_T2_T3_T4_T5_mmT6_P12ihipStream_tbEUlT_E_NS1_11comp_targetILNS1_3genE9ELNS1_11target_archE1100ELNS1_3gpuE3ELNS1_3repE0EEENS1_30default_config_static_selectorELNS0_4arch9wavefront6targetE1EEEvSP_.num_named_barrier, 0
	.set _ZN7rocprim17ROCPRIM_400000_NS6detail17trampoline_kernelINS0_14default_configENS1_21merge_config_selectorIiNS0_10empty_typeEEEZNS1_10merge_implIS3_N6thrust23THRUST_200600_302600_NS6detail15normal_iteratorINS9_10device_ptrIKiEEEESF_NSB_INSC_IiEEEEPS5_SI_SI_NS9_4lessIiEEEE10hipError_tPvRmT0_T1_T2_T3_T4_T5_mmT6_P12ihipStream_tbEUlT_E_NS1_11comp_targetILNS1_3genE9ELNS1_11target_archE1100ELNS1_3gpuE3ELNS1_3repE0EEENS1_30default_config_static_selectorELNS0_4arch9wavefront6targetE1EEEvSP_.private_seg_size, 0
	.set _ZN7rocprim17ROCPRIM_400000_NS6detail17trampoline_kernelINS0_14default_configENS1_21merge_config_selectorIiNS0_10empty_typeEEEZNS1_10merge_implIS3_N6thrust23THRUST_200600_302600_NS6detail15normal_iteratorINS9_10device_ptrIKiEEEESF_NSB_INSC_IiEEEEPS5_SI_SI_NS9_4lessIiEEEE10hipError_tPvRmT0_T1_T2_T3_T4_T5_mmT6_P12ihipStream_tbEUlT_E_NS1_11comp_targetILNS1_3genE9ELNS1_11target_archE1100ELNS1_3gpuE3ELNS1_3repE0EEENS1_30default_config_static_selectorELNS0_4arch9wavefront6targetE1EEEvSP_.uses_vcc, 0
	.set _ZN7rocprim17ROCPRIM_400000_NS6detail17trampoline_kernelINS0_14default_configENS1_21merge_config_selectorIiNS0_10empty_typeEEEZNS1_10merge_implIS3_N6thrust23THRUST_200600_302600_NS6detail15normal_iteratorINS9_10device_ptrIKiEEEESF_NSB_INSC_IiEEEEPS5_SI_SI_NS9_4lessIiEEEE10hipError_tPvRmT0_T1_T2_T3_T4_T5_mmT6_P12ihipStream_tbEUlT_E_NS1_11comp_targetILNS1_3genE9ELNS1_11target_archE1100ELNS1_3gpuE3ELNS1_3repE0EEENS1_30default_config_static_selectorELNS0_4arch9wavefront6targetE1EEEvSP_.uses_flat_scratch, 0
	.set _ZN7rocprim17ROCPRIM_400000_NS6detail17trampoline_kernelINS0_14default_configENS1_21merge_config_selectorIiNS0_10empty_typeEEEZNS1_10merge_implIS3_N6thrust23THRUST_200600_302600_NS6detail15normal_iteratorINS9_10device_ptrIKiEEEESF_NSB_INSC_IiEEEEPS5_SI_SI_NS9_4lessIiEEEE10hipError_tPvRmT0_T1_T2_T3_T4_T5_mmT6_P12ihipStream_tbEUlT_E_NS1_11comp_targetILNS1_3genE9ELNS1_11target_archE1100ELNS1_3gpuE3ELNS1_3repE0EEENS1_30default_config_static_selectorELNS0_4arch9wavefront6targetE1EEEvSP_.has_dyn_sized_stack, 0
	.set _ZN7rocprim17ROCPRIM_400000_NS6detail17trampoline_kernelINS0_14default_configENS1_21merge_config_selectorIiNS0_10empty_typeEEEZNS1_10merge_implIS3_N6thrust23THRUST_200600_302600_NS6detail15normal_iteratorINS9_10device_ptrIKiEEEESF_NSB_INSC_IiEEEEPS5_SI_SI_NS9_4lessIiEEEE10hipError_tPvRmT0_T1_T2_T3_T4_T5_mmT6_P12ihipStream_tbEUlT_E_NS1_11comp_targetILNS1_3genE9ELNS1_11target_archE1100ELNS1_3gpuE3ELNS1_3repE0EEENS1_30default_config_static_selectorELNS0_4arch9wavefront6targetE1EEEvSP_.has_recursion, 0
	.set _ZN7rocprim17ROCPRIM_400000_NS6detail17trampoline_kernelINS0_14default_configENS1_21merge_config_selectorIiNS0_10empty_typeEEEZNS1_10merge_implIS3_N6thrust23THRUST_200600_302600_NS6detail15normal_iteratorINS9_10device_ptrIKiEEEESF_NSB_INSC_IiEEEEPS5_SI_SI_NS9_4lessIiEEEE10hipError_tPvRmT0_T1_T2_T3_T4_T5_mmT6_P12ihipStream_tbEUlT_E_NS1_11comp_targetILNS1_3genE9ELNS1_11target_archE1100ELNS1_3gpuE3ELNS1_3repE0EEENS1_30default_config_static_selectorELNS0_4arch9wavefront6targetE1EEEvSP_.has_indirect_call, 0
	.section	.AMDGPU.csdata,"",@progbits
; Kernel info:
; codeLenInByte = 0
; TotalNumSgprs: 4
; NumVgprs: 0
; ScratchSize: 0
; MemoryBound: 0
; FloatMode: 240
; IeeeMode: 1
; LDSByteSize: 0 bytes/workgroup (compile time only)
; SGPRBlocks: 0
; VGPRBlocks: 0
; NumSGPRsForWavesPerEU: 4
; NumVGPRsForWavesPerEU: 1
; Occupancy: 10
; WaveLimiterHint : 0
; COMPUTE_PGM_RSRC2:SCRATCH_EN: 0
; COMPUTE_PGM_RSRC2:USER_SGPR: 6
; COMPUTE_PGM_RSRC2:TRAP_HANDLER: 0
; COMPUTE_PGM_RSRC2:TGID_X_EN: 1
; COMPUTE_PGM_RSRC2:TGID_Y_EN: 0
; COMPUTE_PGM_RSRC2:TGID_Z_EN: 0
; COMPUTE_PGM_RSRC2:TIDIG_COMP_CNT: 0
	.section	.text._ZN7rocprim17ROCPRIM_400000_NS6detail17trampoline_kernelINS0_14default_configENS1_21merge_config_selectorIiNS0_10empty_typeEEEZNS1_10merge_implIS3_N6thrust23THRUST_200600_302600_NS6detail15normal_iteratorINS9_10device_ptrIKiEEEESF_NSB_INSC_IiEEEEPS5_SI_SI_NS9_4lessIiEEEE10hipError_tPvRmT0_T1_T2_T3_T4_T5_mmT6_P12ihipStream_tbEUlT_E_NS1_11comp_targetILNS1_3genE8ELNS1_11target_archE1030ELNS1_3gpuE2ELNS1_3repE0EEENS1_30default_config_static_selectorELNS0_4arch9wavefront6targetE1EEEvSP_,"axG",@progbits,_ZN7rocprim17ROCPRIM_400000_NS6detail17trampoline_kernelINS0_14default_configENS1_21merge_config_selectorIiNS0_10empty_typeEEEZNS1_10merge_implIS3_N6thrust23THRUST_200600_302600_NS6detail15normal_iteratorINS9_10device_ptrIKiEEEESF_NSB_INSC_IiEEEEPS5_SI_SI_NS9_4lessIiEEEE10hipError_tPvRmT0_T1_T2_T3_T4_T5_mmT6_P12ihipStream_tbEUlT_E_NS1_11comp_targetILNS1_3genE8ELNS1_11target_archE1030ELNS1_3gpuE2ELNS1_3repE0EEENS1_30default_config_static_selectorELNS0_4arch9wavefront6targetE1EEEvSP_,comdat
	.protected	_ZN7rocprim17ROCPRIM_400000_NS6detail17trampoline_kernelINS0_14default_configENS1_21merge_config_selectorIiNS0_10empty_typeEEEZNS1_10merge_implIS3_N6thrust23THRUST_200600_302600_NS6detail15normal_iteratorINS9_10device_ptrIKiEEEESF_NSB_INSC_IiEEEEPS5_SI_SI_NS9_4lessIiEEEE10hipError_tPvRmT0_T1_T2_T3_T4_T5_mmT6_P12ihipStream_tbEUlT_E_NS1_11comp_targetILNS1_3genE8ELNS1_11target_archE1030ELNS1_3gpuE2ELNS1_3repE0EEENS1_30default_config_static_selectorELNS0_4arch9wavefront6targetE1EEEvSP_ ; -- Begin function _ZN7rocprim17ROCPRIM_400000_NS6detail17trampoline_kernelINS0_14default_configENS1_21merge_config_selectorIiNS0_10empty_typeEEEZNS1_10merge_implIS3_N6thrust23THRUST_200600_302600_NS6detail15normal_iteratorINS9_10device_ptrIKiEEEESF_NSB_INSC_IiEEEEPS5_SI_SI_NS9_4lessIiEEEE10hipError_tPvRmT0_T1_T2_T3_T4_T5_mmT6_P12ihipStream_tbEUlT_E_NS1_11comp_targetILNS1_3genE8ELNS1_11target_archE1030ELNS1_3gpuE2ELNS1_3repE0EEENS1_30default_config_static_selectorELNS0_4arch9wavefront6targetE1EEEvSP_
	.globl	_ZN7rocprim17ROCPRIM_400000_NS6detail17trampoline_kernelINS0_14default_configENS1_21merge_config_selectorIiNS0_10empty_typeEEEZNS1_10merge_implIS3_N6thrust23THRUST_200600_302600_NS6detail15normal_iteratorINS9_10device_ptrIKiEEEESF_NSB_INSC_IiEEEEPS5_SI_SI_NS9_4lessIiEEEE10hipError_tPvRmT0_T1_T2_T3_T4_T5_mmT6_P12ihipStream_tbEUlT_E_NS1_11comp_targetILNS1_3genE8ELNS1_11target_archE1030ELNS1_3gpuE2ELNS1_3repE0EEENS1_30default_config_static_selectorELNS0_4arch9wavefront6targetE1EEEvSP_
	.p2align	8
	.type	_ZN7rocprim17ROCPRIM_400000_NS6detail17trampoline_kernelINS0_14default_configENS1_21merge_config_selectorIiNS0_10empty_typeEEEZNS1_10merge_implIS3_N6thrust23THRUST_200600_302600_NS6detail15normal_iteratorINS9_10device_ptrIKiEEEESF_NSB_INSC_IiEEEEPS5_SI_SI_NS9_4lessIiEEEE10hipError_tPvRmT0_T1_T2_T3_T4_T5_mmT6_P12ihipStream_tbEUlT_E_NS1_11comp_targetILNS1_3genE8ELNS1_11target_archE1030ELNS1_3gpuE2ELNS1_3repE0EEENS1_30default_config_static_selectorELNS0_4arch9wavefront6targetE1EEEvSP_,@function
_ZN7rocprim17ROCPRIM_400000_NS6detail17trampoline_kernelINS0_14default_configENS1_21merge_config_selectorIiNS0_10empty_typeEEEZNS1_10merge_implIS3_N6thrust23THRUST_200600_302600_NS6detail15normal_iteratorINS9_10device_ptrIKiEEEESF_NSB_INSC_IiEEEEPS5_SI_SI_NS9_4lessIiEEEE10hipError_tPvRmT0_T1_T2_T3_T4_T5_mmT6_P12ihipStream_tbEUlT_E_NS1_11comp_targetILNS1_3genE8ELNS1_11target_archE1030ELNS1_3gpuE2ELNS1_3repE0EEENS1_30default_config_static_selectorELNS0_4arch9wavefront6targetE1EEEvSP_: ; @_ZN7rocprim17ROCPRIM_400000_NS6detail17trampoline_kernelINS0_14default_configENS1_21merge_config_selectorIiNS0_10empty_typeEEEZNS1_10merge_implIS3_N6thrust23THRUST_200600_302600_NS6detail15normal_iteratorINS9_10device_ptrIKiEEEESF_NSB_INSC_IiEEEEPS5_SI_SI_NS9_4lessIiEEEE10hipError_tPvRmT0_T1_T2_T3_T4_T5_mmT6_P12ihipStream_tbEUlT_E_NS1_11comp_targetILNS1_3genE8ELNS1_11target_archE1030ELNS1_3gpuE2ELNS1_3repE0EEENS1_30default_config_static_selectorELNS0_4arch9wavefront6targetE1EEEvSP_
; %bb.0:
	.section	.rodata,"a",@progbits
	.p2align	6, 0x0
	.amdhsa_kernel _ZN7rocprim17ROCPRIM_400000_NS6detail17trampoline_kernelINS0_14default_configENS1_21merge_config_selectorIiNS0_10empty_typeEEEZNS1_10merge_implIS3_N6thrust23THRUST_200600_302600_NS6detail15normal_iteratorINS9_10device_ptrIKiEEEESF_NSB_INSC_IiEEEEPS5_SI_SI_NS9_4lessIiEEEE10hipError_tPvRmT0_T1_T2_T3_T4_T5_mmT6_P12ihipStream_tbEUlT_E_NS1_11comp_targetILNS1_3genE8ELNS1_11target_archE1030ELNS1_3gpuE2ELNS1_3repE0EEENS1_30default_config_static_selectorELNS0_4arch9wavefront6targetE1EEEvSP_
		.amdhsa_group_segment_fixed_size 0
		.amdhsa_private_segment_fixed_size 0
		.amdhsa_kernarg_size 48
		.amdhsa_user_sgpr_count 6
		.amdhsa_user_sgpr_private_segment_buffer 1
		.amdhsa_user_sgpr_dispatch_ptr 0
		.amdhsa_user_sgpr_queue_ptr 0
		.amdhsa_user_sgpr_kernarg_segment_ptr 1
		.amdhsa_user_sgpr_dispatch_id 0
		.amdhsa_user_sgpr_flat_scratch_init 0
		.amdhsa_user_sgpr_private_segment_size 0
		.amdhsa_uses_dynamic_stack 0
		.amdhsa_system_sgpr_private_segment_wavefront_offset 0
		.amdhsa_system_sgpr_workgroup_id_x 1
		.amdhsa_system_sgpr_workgroup_id_y 0
		.amdhsa_system_sgpr_workgroup_id_z 0
		.amdhsa_system_sgpr_workgroup_info 0
		.amdhsa_system_vgpr_workitem_id 0
		.amdhsa_next_free_vgpr 1
		.amdhsa_next_free_sgpr 0
		.amdhsa_reserve_vcc 0
		.amdhsa_reserve_flat_scratch 0
		.amdhsa_float_round_mode_32 0
		.amdhsa_float_round_mode_16_64 0
		.amdhsa_float_denorm_mode_32 3
		.amdhsa_float_denorm_mode_16_64 3
		.amdhsa_dx10_clamp 1
		.amdhsa_ieee_mode 1
		.amdhsa_fp16_overflow 0
		.amdhsa_exception_fp_ieee_invalid_op 0
		.amdhsa_exception_fp_denorm_src 0
		.amdhsa_exception_fp_ieee_div_zero 0
		.amdhsa_exception_fp_ieee_overflow 0
		.amdhsa_exception_fp_ieee_underflow 0
		.amdhsa_exception_fp_ieee_inexact 0
		.amdhsa_exception_int_div_zero 0
	.end_amdhsa_kernel
	.section	.text._ZN7rocprim17ROCPRIM_400000_NS6detail17trampoline_kernelINS0_14default_configENS1_21merge_config_selectorIiNS0_10empty_typeEEEZNS1_10merge_implIS3_N6thrust23THRUST_200600_302600_NS6detail15normal_iteratorINS9_10device_ptrIKiEEEESF_NSB_INSC_IiEEEEPS5_SI_SI_NS9_4lessIiEEEE10hipError_tPvRmT0_T1_T2_T3_T4_T5_mmT6_P12ihipStream_tbEUlT_E_NS1_11comp_targetILNS1_3genE8ELNS1_11target_archE1030ELNS1_3gpuE2ELNS1_3repE0EEENS1_30default_config_static_selectorELNS0_4arch9wavefront6targetE1EEEvSP_,"axG",@progbits,_ZN7rocprim17ROCPRIM_400000_NS6detail17trampoline_kernelINS0_14default_configENS1_21merge_config_selectorIiNS0_10empty_typeEEEZNS1_10merge_implIS3_N6thrust23THRUST_200600_302600_NS6detail15normal_iteratorINS9_10device_ptrIKiEEEESF_NSB_INSC_IiEEEEPS5_SI_SI_NS9_4lessIiEEEE10hipError_tPvRmT0_T1_T2_T3_T4_T5_mmT6_P12ihipStream_tbEUlT_E_NS1_11comp_targetILNS1_3genE8ELNS1_11target_archE1030ELNS1_3gpuE2ELNS1_3repE0EEENS1_30default_config_static_selectorELNS0_4arch9wavefront6targetE1EEEvSP_,comdat
.Lfunc_end9:
	.size	_ZN7rocprim17ROCPRIM_400000_NS6detail17trampoline_kernelINS0_14default_configENS1_21merge_config_selectorIiNS0_10empty_typeEEEZNS1_10merge_implIS3_N6thrust23THRUST_200600_302600_NS6detail15normal_iteratorINS9_10device_ptrIKiEEEESF_NSB_INSC_IiEEEEPS5_SI_SI_NS9_4lessIiEEEE10hipError_tPvRmT0_T1_T2_T3_T4_T5_mmT6_P12ihipStream_tbEUlT_E_NS1_11comp_targetILNS1_3genE8ELNS1_11target_archE1030ELNS1_3gpuE2ELNS1_3repE0EEENS1_30default_config_static_selectorELNS0_4arch9wavefront6targetE1EEEvSP_, .Lfunc_end9-_ZN7rocprim17ROCPRIM_400000_NS6detail17trampoline_kernelINS0_14default_configENS1_21merge_config_selectorIiNS0_10empty_typeEEEZNS1_10merge_implIS3_N6thrust23THRUST_200600_302600_NS6detail15normal_iteratorINS9_10device_ptrIKiEEEESF_NSB_INSC_IiEEEEPS5_SI_SI_NS9_4lessIiEEEE10hipError_tPvRmT0_T1_T2_T3_T4_T5_mmT6_P12ihipStream_tbEUlT_E_NS1_11comp_targetILNS1_3genE8ELNS1_11target_archE1030ELNS1_3gpuE2ELNS1_3repE0EEENS1_30default_config_static_selectorELNS0_4arch9wavefront6targetE1EEEvSP_
                                        ; -- End function
	.set _ZN7rocprim17ROCPRIM_400000_NS6detail17trampoline_kernelINS0_14default_configENS1_21merge_config_selectorIiNS0_10empty_typeEEEZNS1_10merge_implIS3_N6thrust23THRUST_200600_302600_NS6detail15normal_iteratorINS9_10device_ptrIKiEEEESF_NSB_INSC_IiEEEEPS5_SI_SI_NS9_4lessIiEEEE10hipError_tPvRmT0_T1_T2_T3_T4_T5_mmT6_P12ihipStream_tbEUlT_E_NS1_11comp_targetILNS1_3genE8ELNS1_11target_archE1030ELNS1_3gpuE2ELNS1_3repE0EEENS1_30default_config_static_selectorELNS0_4arch9wavefront6targetE1EEEvSP_.num_vgpr, 0
	.set _ZN7rocprim17ROCPRIM_400000_NS6detail17trampoline_kernelINS0_14default_configENS1_21merge_config_selectorIiNS0_10empty_typeEEEZNS1_10merge_implIS3_N6thrust23THRUST_200600_302600_NS6detail15normal_iteratorINS9_10device_ptrIKiEEEESF_NSB_INSC_IiEEEEPS5_SI_SI_NS9_4lessIiEEEE10hipError_tPvRmT0_T1_T2_T3_T4_T5_mmT6_P12ihipStream_tbEUlT_E_NS1_11comp_targetILNS1_3genE8ELNS1_11target_archE1030ELNS1_3gpuE2ELNS1_3repE0EEENS1_30default_config_static_selectorELNS0_4arch9wavefront6targetE1EEEvSP_.num_agpr, 0
	.set _ZN7rocprim17ROCPRIM_400000_NS6detail17trampoline_kernelINS0_14default_configENS1_21merge_config_selectorIiNS0_10empty_typeEEEZNS1_10merge_implIS3_N6thrust23THRUST_200600_302600_NS6detail15normal_iteratorINS9_10device_ptrIKiEEEESF_NSB_INSC_IiEEEEPS5_SI_SI_NS9_4lessIiEEEE10hipError_tPvRmT0_T1_T2_T3_T4_T5_mmT6_P12ihipStream_tbEUlT_E_NS1_11comp_targetILNS1_3genE8ELNS1_11target_archE1030ELNS1_3gpuE2ELNS1_3repE0EEENS1_30default_config_static_selectorELNS0_4arch9wavefront6targetE1EEEvSP_.numbered_sgpr, 0
	.set _ZN7rocprim17ROCPRIM_400000_NS6detail17trampoline_kernelINS0_14default_configENS1_21merge_config_selectorIiNS0_10empty_typeEEEZNS1_10merge_implIS3_N6thrust23THRUST_200600_302600_NS6detail15normal_iteratorINS9_10device_ptrIKiEEEESF_NSB_INSC_IiEEEEPS5_SI_SI_NS9_4lessIiEEEE10hipError_tPvRmT0_T1_T2_T3_T4_T5_mmT6_P12ihipStream_tbEUlT_E_NS1_11comp_targetILNS1_3genE8ELNS1_11target_archE1030ELNS1_3gpuE2ELNS1_3repE0EEENS1_30default_config_static_selectorELNS0_4arch9wavefront6targetE1EEEvSP_.num_named_barrier, 0
	.set _ZN7rocprim17ROCPRIM_400000_NS6detail17trampoline_kernelINS0_14default_configENS1_21merge_config_selectorIiNS0_10empty_typeEEEZNS1_10merge_implIS3_N6thrust23THRUST_200600_302600_NS6detail15normal_iteratorINS9_10device_ptrIKiEEEESF_NSB_INSC_IiEEEEPS5_SI_SI_NS9_4lessIiEEEE10hipError_tPvRmT0_T1_T2_T3_T4_T5_mmT6_P12ihipStream_tbEUlT_E_NS1_11comp_targetILNS1_3genE8ELNS1_11target_archE1030ELNS1_3gpuE2ELNS1_3repE0EEENS1_30default_config_static_selectorELNS0_4arch9wavefront6targetE1EEEvSP_.private_seg_size, 0
	.set _ZN7rocprim17ROCPRIM_400000_NS6detail17trampoline_kernelINS0_14default_configENS1_21merge_config_selectorIiNS0_10empty_typeEEEZNS1_10merge_implIS3_N6thrust23THRUST_200600_302600_NS6detail15normal_iteratorINS9_10device_ptrIKiEEEESF_NSB_INSC_IiEEEEPS5_SI_SI_NS9_4lessIiEEEE10hipError_tPvRmT0_T1_T2_T3_T4_T5_mmT6_P12ihipStream_tbEUlT_E_NS1_11comp_targetILNS1_3genE8ELNS1_11target_archE1030ELNS1_3gpuE2ELNS1_3repE0EEENS1_30default_config_static_selectorELNS0_4arch9wavefront6targetE1EEEvSP_.uses_vcc, 0
	.set _ZN7rocprim17ROCPRIM_400000_NS6detail17trampoline_kernelINS0_14default_configENS1_21merge_config_selectorIiNS0_10empty_typeEEEZNS1_10merge_implIS3_N6thrust23THRUST_200600_302600_NS6detail15normal_iteratorINS9_10device_ptrIKiEEEESF_NSB_INSC_IiEEEEPS5_SI_SI_NS9_4lessIiEEEE10hipError_tPvRmT0_T1_T2_T3_T4_T5_mmT6_P12ihipStream_tbEUlT_E_NS1_11comp_targetILNS1_3genE8ELNS1_11target_archE1030ELNS1_3gpuE2ELNS1_3repE0EEENS1_30default_config_static_selectorELNS0_4arch9wavefront6targetE1EEEvSP_.uses_flat_scratch, 0
	.set _ZN7rocprim17ROCPRIM_400000_NS6detail17trampoline_kernelINS0_14default_configENS1_21merge_config_selectorIiNS0_10empty_typeEEEZNS1_10merge_implIS3_N6thrust23THRUST_200600_302600_NS6detail15normal_iteratorINS9_10device_ptrIKiEEEESF_NSB_INSC_IiEEEEPS5_SI_SI_NS9_4lessIiEEEE10hipError_tPvRmT0_T1_T2_T3_T4_T5_mmT6_P12ihipStream_tbEUlT_E_NS1_11comp_targetILNS1_3genE8ELNS1_11target_archE1030ELNS1_3gpuE2ELNS1_3repE0EEENS1_30default_config_static_selectorELNS0_4arch9wavefront6targetE1EEEvSP_.has_dyn_sized_stack, 0
	.set _ZN7rocprim17ROCPRIM_400000_NS6detail17trampoline_kernelINS0_14default_configENS1_21merge_config_selectorIiNS0_10empty_typeEEEZNS1_10merge_implIS3_N6thrust23THRUST_200600_302600_NS6detail15normal_iteratorINS9_10device_ptrIKiEEEESF_NSB_INSC_IiEEEEPS5_SI_SI_NS9_4lessIiEEEE10hipError_tPvRmT0_T1_T2_T3_T4_T5_mmT6_P12ihipStream_tbEUlT_E_NS1_11comp_targetILNS1_3genE8ELNS1_11target_archE1030ELNS1_3gpuE2ELNS1_3repE0EEENS1_30default_config_static_selectorELNS0_4arch9wavefront6targetE1EEEvSP_.has_recursion, 0
	.set _ZN7rocprim17ROCPRIM_400000_NS6detail17trampoline_kernelINS0_14default_configENS1_21merge_config_selectorIiNS0_10empty_typeEEEZNS1_10merge_implIS3_N6thrust23THRUST_200600_302600_NS6detail15normal_iteratorINS9_10device_ptrIKiEEEESF_NSB_INSC_IiEEEEPS5_SI_SI_NS9_4lessIiEEEE10hipError_tPvRmT0_T1_T2_T3_T4_T5_mmT6_P12ihipStream_tbEUlT_E_NS1_11comp_targetILNS1_3genE8ELNS1_11target_archE1030ELNS1_3gpuE2ELNS1_3repE0EEENS1_30default_config_static_selectorELNS0_4arch9wavefront6targetE1EEEvSP_.has_indirect_call, 0
	.section	.AMDGPU.csdata,"",@progbits
; Kernel info:
; codeLenInByte = 0
; TotalNumSgprs: 4
; NumVgprs: 0
; ScratchSize: 0
; MemoryBound: 0
; FloatMode: 240
; IeeeMode: 1
; LDSByteSize: 0 bytes/workgroup (compile time only)
; SGPRBlocks: 0
; VGPRBlocks: 0
; NumSGPRsForWavesPerEU: 4
; NumVGPRsForWavesPerEU: 1
; Occupancy: 10
; WaveLimiterHint : 0
; COMPUTE_PGM_RSRC2:SCRATCH_EN: 0
; COMPUTE_PGM_RSRC2:USER_SGPR: 6
; COMPUTE_PGM_RSRC2:TRAP_HANDLER: 0
; COMPUTE_PGM_RSRC2:TGID_X_EN: 1
; COMPUTE_PGM_RSRC2:TGID_Y_EN: 0
; COMPUTE_PGM_RSRC2:TGID_Z_EN: 0
; COMPUTE_PGM_RSRC2:TIDIG_COMP_CNT: 0
	.section	.text._ZN7rocprim17ROCPRIM_400000_NS6detail17trampoline_kernelINS0_14default_configENS1_21merge_config_selectorIiNS0_10empty_typeEEEZNS1_10merge_implIS3_N6thrust23THRUST_200600_302600_NS6detail15normal_iteratorINS9_10device_ptrIKiEEEESF_NSB_INSC_IiEEEEPS5_SI_SI_NS9_4lessIiEEEE10hipError_tPvRmT0_T1_T2_T3_T4_T5_mmT6_P12ihipStream_tbEUlT_E0_NS1_11comp_targetILNS1_3genE0ELNS1_11target_archE4294967295ELNS1_3gpuE0ELNS1_3repE0EEENS1_30default_config_static_selectorELNS0_4arch9wavefront6targetE1EEEvSP_,"axG",@progbits,_ZN7rocprim17ROCPRIM_400000_NS6detail17trampoline_kernelINS0_14default_configENS1_21merge_config_selectorIiNS0_10empty_typeEEEZNS1_10merge_implIS3_N6thrust23THRUST_200600_302600_NS6detail15normal_iteratorINS9_10device_ptrIKiEEEESF_NSB_INSC_IiEEEEPS5_SI_SI_NS9_4lessIiEEEE10hipError_tPvRmT0_T1_T2_T3_T4_T5_mmT6_P12ihipStream_tbEUlT_E0_NS1_11comp_targetILNS1_3genE0ELNS1_11target_archE4294967295ELNS1_3gpuE0ELNS1_3repE0EEENS1_30default_config_static_selectorELNS0_4arch9wavefront6targetE1EEEvSP_,comdat
	.protected	_ZN7rocprim17ROCPRIM_400000_NS6detail17trampoline_kernelINS0_14default_configENS1_21merge_config_selectorIiNS0_10empty_typeEEEZNS1_10merge_implIS3_N6thrust23THRUST_200600_302600_NS6detail15normal_iteratorINS9_10device_ptrIKiEEEESF_NSB_INSC_IiEEEEPS5_SI_SI_NS9_4lessIiEEEE10hipError_tPvRmT0_T1_T2_T3_T4_T5_mmT6_P12ihipStream_tbEUlT_E0_NS1_11comp_targetILNS1_3genE0ELNS1_11target_archE4294967295ELNS1_3gpuE0ELNS1_3repE0EEENS1_30default_config_static_selectorELNS0_4arch9wavefront6targetE1EEEvSP_ ; -- Begin function _ZN7rocprim17ROCPRIM_400000_NS6detail17trampoline_kernelINS0_14default_configENS1_21merge_config_selectorIiNS0_10empty_typeEEEZNS1_10merge_implIS3_N6thrust23THRUST_200600_302600_NS6detail15normal_iteratorINS9_10device_ptrIKiEEEESF_NSB_INSC_IiEEEEPS5_SI_SI_NS9_4lessIiEEEE10hipError_tPvRmT0_T1_T2_T3_T4_T5_mmT6_P12ihipStream_tbEUlT_E0_NS1_11comp_targetILNS1_3genE0ELNS1_11target_archE4294967295ELNS1_3gpuE0ELNS1_3repE0EEENS1_30default_config_static_selectorELNS0_4arch9wavefront6targetE1EEEvSP_
	.globl	_ZN7rocprim17ROCPRIM_400000_NS6detail17trampoline_kernelINS0_14default_configENS1_21merge_config_selectorIiNS0_10empty_typeEEEZNS1_10merge_implIS3_N6thrust23THRUST_200600_302600_NS6detail15normal_iteratorINS9_10device_ptrIKiEEEESF_NSB_INSC_IiEEEEPS5_SI_SI_NS9_4lessIiEEEE10hipError_tPvRmT0_T1_T2_T3_T4_T5_mmT6_P12ihipStream_tbEUlT_E0_NS1_11comp_targetILNS1_3genE0ELNS1_11target_archE4294967295ELNS1_3gpuE0ELNS1_3repE0EEENS1_30default_config_static_selectorELNS0_4arch9wavefront6targetE1EEEvSP_
	.p2align	8
	.type	_ZN7rocprim17ROCPRIM_400000_NS6detail17trampoline_kernelINS0_14default_configENS1_21merge_config_selectorIiNS0_10empty_typeEEEZNS1_10merge_implIS3_N6thrust23THRUST_200600_302600_NS6detail15normal_iteratorINS9_10device_ptrIKiEEEESF_NSB_INSC_IiEEEEPS5_SI_SI_NS9_4lessIiEEEE10hipError_tPvRmT0_T1_T2_T3_T4_T5_mmT6_P12ihipStream_tbEUlT_E0_NS1_11comp_targetILNS1_3genE0ELNS1_11target_archE4294967295ELNS1_3gpuE0ELNS1_3repE0EEENS1_30default_config_static_selectorELNS0_4arch9wavefront6targetE1EEEvSP_,@function
_ZN7rocprim17ROCPRIM_400000_NS6detail17trampoline_kernelINS0_14default_configENS1_21merge_config_selectorIiNS0_10empty_typeEEEZNS1_10merge_implIS3_N6thrust23THRUST_200600_302600_NS6detail15normal_iteratorINS9_10device_ptrIKiEEEESF_NSB_INSC_IiEEEEPS5_SI_SI_NS9_4lessIiEEEE10hipError_tPvRmT0_T1_T2_T3_T4_T5_mmT6_P12ihipStream_tbEUlT_E0_NS1_11comp_targetILNS1_3genE0ELNS1_11target_archE4294967295ELNS1_3gpuE0ELNS1_3repE0EEENS1_30default_config_static_selectorELNS0_4arch9wavefront6targetE1EEEvSP_: ; @_ZN7rocprim17ROCPRIM_400000_NS6detail17trampoline_kernelINS0_14default_configENS1_21merge_config_selectorIiNS0_10empty_typeEEEZNS1_10merge_implIS3_N6thrust23THRUST_200600_302600_NS6detail15normal_iteratorINS9_10device_ptrIKiEEEESF_NSB_INSC_IiEEEEPS5_SI_SI_NS9_4lessIiEEEE10hipError_tPvRmT0_T1_T2_T3_T4_T5_mmT6_P12ihipStream_tbEUlT_E0_NS1_11comp_targetILNS1_3genE0ELNS1_11target_archE4294967295ELNS1_3gpuE0ELNS1_3repE0EEENS1_30default_config_static_selectorELNS0_4arch9wavefront6targetE1EEEvSP_
; %bb.0:
	.section	.rodata,"a",@progbits
	.p2align	6, 0x0
	.amdhsa_kernel _ZN7rocprim17ROCPRIM_400000_NS6detail17trampoline_kernelINS0_14default_configENS1_21merge_config_selectorIiNS0_10empty_typeEEEZNS1_10merge_implIS3_N6thrust23THRUST_200600_302600_NS6detail15normal_iteratorINS9_10device_ptrIKiEEEESF_NSB_INSC_IiEEEEPS5_SI_SI_NS9_4lessIiEEEE10hipError_tPvRmT0_T1_T2_T3_T4_T5_mmT6_P12ihipStream_tbEUlT_E0_NS1_11comp_targetILNS1_3genE0ELNS1_11target_archE4294967295ELNS1_3gpuE0ELNS1_3repE0EEENS1_30default_config_static_selectorELNS0_4arch9wavefront6targetE1EEEvSP_
		.amdhsa_group_segment_fixed_size 0
		.amdhsa_private_segment_fixed_size 0
		.amdhsa_kernarg_size 88
		.amdhsa_user_sgpr_count 6
		.amdhsa_user_sgpr_private_segment_buffer 1
		.amdhsa_user_sgpr_dispatch_ptr 0
		.amdhsa_user_sgpr_queue_ptr 0
		.amdhsa_user_sgpr_kernarg_segment_ptr 1
		.amdhsa_user_sgpr_dispatch_id 0
		.amdhsa_user_sgpr_flat_scratch_init 0
		.amdhsa_user_sgpr_private_segment_size 0
		.amdhsa_uses_dynamic_stack 0
		.amdhsa_system_sgpr_private_segment_wavefront_offset 0
		.amdhsa_system_sgpr_workgroup_id_x 1
		.amdhsa_system_sgpr_workgroup_id_y 0
		.amdhsa_system_sgpr_workgroup_id_z 0
		.amdhsa_system_sgpr_workgroup_info 0
		.amdhsa_system_vgpr_workitem_id 0
		.amdhsa_next_free_vgpr 1
		.amdhsa_next_free_sgpr 0
		.amdhsa_reserve_vcc 0
		.amdhsa_reserve_flat_scratch 0
		.amdhsa_float_round_mode_32 0
		.amdhsa_float_round_mode_16_64 0
		.amdhsa_float_denorm_mode_32 3
		.amdhsa_float_denorm_mode_16_64 3
		.amdhsa_dx10_clamp 1
		.amdhsa_ieee_mode 1
		.amdhsa_fp16_overflow 0
		.amdhsa_exception_fp_ieee_invalid_op 0
		.amdhsa_exception_fp_denorm_src 0
		.amdhsa_exception_fp_ieee_div_zero 0
		.amdhsa_exception_fp_ieee_overflow 0
		.amdhsa_exception_fp_ieee_underflow 0
		.amdhsa_exception_fp_ieee_inexact 0
		.amdhsa_exception_int_div_zero 0
	.end_amdhsa_kernel
	.section	.text._ZN7rocprim17ROCPRIM_400000_NS6detail17trampoline_kernelINS0_14default_configENS1_21merge_config_selectorIiNS0_10empty_typeEEEZNS1_10merge_implIS3_N6thrust23THRUST_200600_302600_NS6detail15normal_iteratorINS9_10device_ptrIKiEEEESF_NSB_INSC_IiEEEEPS5_SI_SI_NS9_4lessIiEEEE10hipError_tPvRmT0_T1_T2_T3_T4_T5_mmT6_P12ihipStream_tbEUlT_E0_NS1_11comp_targetILNS1_3genE0ELNS1_11target_archE4294967295ELNS1_3gpuE0ELNS1_3repE0EEENS1_30default_config_static_selectorELNS0_4arch9wavefront6targetE1EEEvSP_,"axG",@progbits,_ZN7rocprim17ROCPRIM_400000_NS6detail17trampoline_kernelINS0_14default_configENS1_21merge_config_selectorIiNS0_10empty_typeEEEZNS1_10merge_implIS3_N6thrust23THRUST_200600_302600_NS6detail15normal_iteratorINS9_10device_ptrIKiEEEESF_NSB_INSC_IiEEEEPS5_SI_SI_NS9_4lessIiEEEE10hipError_tPvRmT0_T1_T2_T3_T4_T5_mmT6_P12ihipStream_tbEUlT_E0_NS1_11comp_targetILNS1_3genE0ELNS1_11target_archE4294967295ELNS1_3gpuE0ELNS1_3repE0EEENS1_30default_config_static_selectorELNS0_4arch9wavefront6targetE1EEEvSP_,comdat
.Lfunc_end10:
	.size	_ZN7rocprim17ROCPRIM_400000_NS6detail17trampoline_kernelINS0_14default_configENS1_21merge_config_selectorIiNS0_10empty_typeEEEZNS1_10merge_implIS3_N6thrust23THRUST_200600_302600_NS6detail15normal_iteratorINS9_10device_ptrIKiEEEESF_NSB_INSC_IiEEEEPS5_SI_SI_NS9_4lessIiEEEE10hipError_tPvRmT0_T1_T2_T3_T4_T5_mmT6_P12ihipStream_tbEUlT_E0_NS1_11comp_targetILNS1_3genE0ELNS1_11target_archE4294967295ELNS1_3gpuE0ELNS1_3repE0EEENS1_30default_config_static_selectorELNS0_4arch9wavefront6targetE1EEEvSP_, .Lfunc_end10-_ZN7rocprim17ROCPRIM_400000_NS6detail17trampoline_kernelINS0_14default_configENS1_21merge_config_selectorIiNS0_10empty_typeEEEZNS1_10merge_implIS3_N6thrust23THRUST_200600_302600_NS6detail15normal_iteratorINS9_10device_ptrIKiEEEESF_NSB_INSC_IiEEEEPS5_SI_SI_NS9_4lessIiEEEE10hipError_tPvRmT0_T1_T2_T3_T4_T5_mmT6_P12ihipStream_tbEUlT_E0_NS1_11comp_targetILNS1_3genE0ELNS1_11target_archE4294967295ELNS1_3gpuE0ELNS1_3repE0EEENS1_30default_config_static_selectorELNS0_4arch9wavefront6targetE1EEEvSP_
                                        ; -- End function
	.set _ZN7rocprim17ROCPRIM_400000_NS6detail17trampoline_kernelINS0_14default_configENS1_21merge_config_selectorIiNS0_10empty_typeEEEZNS1_10merge_implIS3_N6thrust23THRUST_200600_302600_NS6detail15normal_iteratorINS9_10device_ptrIKiEEEESF_NSB_INSC_IiEEEEPS5_SI_SI_NS9_4lessIiEEEE10hipError_tPvRmT0_T1_T2_T3_T4_T5_mmT6_P12ihipStream_tbEUlT_E0_NS1_11comp_targetILNS1_3genE0ELNS1_11target_archE4294967295ELNS1_3gpuE0ELNS1_3repE0EEENS1_30default_config_static_selectorELNS0_4arch9wavefront6targetE1EEEvSP_.num_vgpr, 0
	.set _ZN7rocprim17ROCPRIM_400000_NS6detail17trampoline_kernelINS0_14default_configENS1_21merge_config_selectorIiNS0_10empty_typeEEEZNS1_10merge_implIS3_N6thrust23THRUST_200600_302600_NS6detail15normal_iteratorINS9_10device_ptrIKiEEEESF_NSB_INSC_IiEEEEPS5_SI_SI_NS9_4lessIiEEEE10hipError_tPvRmT0_T1_T2_T3_T4_T5_mmT6_P12ihipStream_tbEUlT_E0_NS1_11comp_targetILNS1_3genE0ELNS1_11target_archE4294967295ELNS1_3gpuE0ELNS1_3repE0EEENS1_30default_config_static_selectorELNS0_4arch9wavefront6targetE1EEEvSP_.num_agpr, 0
	.set _ZN7rocprim17ROCPRIM_400000_NS6detail17trampoline_kernelINS0_14default_configENS1_21merge_config_selectorIiNS0_10empty_typeEEEZNS1_10merge_implIS3_N6thrust23THRUST_200600_302600_NS6detail15normal_iteratorINS9_10device_ptrIKiEEEESF_NSB_INSC_IiEEEEPS5_SI_SI_NS9_4lessIiEEEE10hipError_tPvRmT0_T1_T2_T3_T4_T5_mmT6_P12ihipStream_tbEUlT_E0_NS1_11comp_targetILNS1_3genE0ELNS1_11target_archE4294967295ELNS1_3gpuE0ELNS1_3repE0EEENS1_30default_config_static_selectorELNS0_4arch9wavefront6targetE1EEEvSP_.numbered_sgpr, 0
	.set _ZN7rocprim17ROCPRIM_400000_NS6detail17trampoline_kernelINS0_14default_configENS1_21merge_config_selectorIiNS0_10empty_typeEEEZNS1_10merge_implIS3_N6thrust23THRUST_200600_302600_NS6detail15normal_iteratorINS9_10device_ptrIKiEEEESF_NSB_INSC_IiEEEEPS5_SI_SI_NS9_4lessIiEEEE10hipError_tPvRmT0_T1_T2_T3_T4_T5_mmT6_P12ihipStream_tbEUlT_E0_NS1_11comp_targetILNS1_3genE0ELNS1_11target_archE4294967295ELNS1_3gpuE0ELNS1_3repE0EEENS1_30default_config_static_selectorELNS0_4arch9wavefront6targetE1EEEvSP_.num_named_barrier, 0
	.set _ZN7rocprim17ROCPRIM_400000_NS6detail17trampoline_kernelINS0_14default_configENS1_21merge_config_selectorIiNS0_10empty_typeEEEZNS1_10merge_implIS3_N6thrust23THRUST_200600_302600_NS6detail15normal_iteratorINS9_10device_ptrIKiEEEESF_NSB_INSC_IiEEEEPS5_SI_SI_NS9_4lessIiEEEE10hipError_tPvRmT0_T1_T2_T3_T4_T5_mmT6_P12ihipStream_tbEUlT_E0_NS1_11comp_targetILNS1_3genE0ELNS1_11target_archE4294967295ELNS1_3gpuE0ELNS1_3repE0EEENS1_30default_config_static_selectorELNS0_4arch9wavefront6targetE1EEEvSP_.private_seg_size, 0
	.set _ZN7rocprim17ROCPRIM_400000_NS6detail17trampoline_kernelINS0_14default_configENS1_21merge_config_selectorIiNS0_10empty_typeEEEZNS1_10merge_implIS3_N6thrust23THRUST_200600_302600_NS6detail15normal_iteratorINS9_10device_ptrIKiEEEESF_NSB_INSC_IiEEEEPS5_SI_SI_NS9_4lessIiEEEE10hipError_tPvRmT0_T1_T2_T3_T4_T5_mmT6_P12ihipStream_tbEUlT_E0_NS1_11comp_targetILNS1_3genE0ELNS1_11target_archE4294967295ELNS1_3gpuE0ELNS1_3repE0EEENS1_30default_config_static_selectorELNS0_4arch9wavefront6targetE1EEEvSP_.uses_vcc, 0
	.set _ZN7rocprim17ROCPRIM_400000_NS6detail17trampoline_kernelINS0_14default_configENS1_21merge_config_selectorIiNS0_10empty_typeEEEZNS1_10merge_implIS3_N6thrust23THRUST_200600_302600_NS6detail15normal_iteratorINS9_10device_ptrIKiEEEESF_NSB_INSC_IiEEEEPS5_SI_SI_NS9_4lessIiEEEE10hipError_tPvRmT0_T1_T2_T3_T4_T5_mmT6_P12ihipStream_tbEUlT_E0_NS1_11comp_targetILNS1_3genE0ELNS1_11target_archE4294967295ELNS1_3gpuE0ELNS1_3repE0EEENS1_30default_config_static_selectorELNS0_4arch9wavefront6targetE1EEEvSP_.uses_flat_scratch, 0
	.set _ZN7rocprim17ROCPRIM_400000_NS6detail17trampoline_kernelINS0_14default_configENS1_21merge_config_selectorIiNS0_10empty_typeEEEZNS1_10merge_implIS3_N6thrust23THRUST_200600_302600_NS6detail15normal_iteratorINS9_10device_ptrIKiEEEESF_NSB_INSC_IiEEEEPS5_SI_SI_NS9_4lessIiEEEE10hipError_tPvRmT0_T1_T2_T3_T4_T5_mmT6_P12ihipStream_tbEUlT_E0_NS1_11comp_targetILNS1_3genE0ELNS1_11target_archE4294967295ELNS1_3gpuE0ELNS1_3repE0EEENS1_30default_config_static_selectorELNS0_4arch9wavefront6targetE1EEEvSP_.has_dyn_sized_stack, 0
	.set _ZN7rocprim17ROCPRIM_400000_NS6detail17trampoline_kernelINS0_14default_configENS1_21merge_config_selectorIiNS0_10empty_typeEEEZNS1_10merge_implIS3_N6thrust23THRUST_200600_302600_NS6detail15normal_iteratorINS9_10device_ptrIKiEEEESF_NSB_INSC_IiEEEEPS5_SI_SI_NS9_4lessIiEEEE10hipError_tPvRmT0_T1_T2_T3_T4_T5_mmT6_P12ihipStream_tbEUlT_E0_NS1_11comp_targetILNS1_3genE0ELNS1_11target_archE4294967295ELNS1_3gpuE0ELNS1_3repE0EEENS1_30default_config_static_selectorELNS0_4arch9wavefront6targetE1EEEvSP_.has_recursion, 0
	.set _ZN7rocprim17ROCPRIM_400000_NS6detail17trampoline_kernelINS0_14default_configENS1_21merge_config_selectorIiNS0_10empty_typeEEEZNS1_10merge_implIS3_N6thrust23THRUST_200600_302600_NS6detail15normal_iteratorINS9_10device_ptrIKiEEEESF_NSB_INSC_IiEEEEPS5_SI_SI_NS9_4lessIiEEEE10hipError_tPvRmT0_T1_T2_T3_T4_T5_mmT6_P12ihipStream_tbEUlT_E0_NS1_11comp_targetILNS1_3genE0ELNS1_11target_archE4294967295ELNS1_3gpuE0ELNS1_3repE0EEENS1_30default_config_static_selectorELNS0_4arch9wavefront6targetE1EEEvSP_.has_indirect_call, 0
	.section	.AMDGPU.csdata,"",@progbits
; Kernel info:
; codeLenInByte = 0
; TotalNumSgprs: 4
; NumVgprs: 0
; ScratchSize: 0
; MemoryBound: 0
; FloatMode: 240
; IeeeMode: 1
; LDSByteSize: 0 bytes/workgroup (compile time only)
; SGPRBlocks: 0
; VGPRBlocks: 0
; NumSGPRsForWavesPerEU: 4
; NumVGPRsForWavesPerEU: 1
; Occupancy: 10
; WaveLimiterHint : 0
; COMPUTE_PGM_RSRC2:SCRATCH_EN: 0
; COMPUTE_PGM_RSRC2:USER_SGPR: 6
; COMPUTE_PGM_RSRC2:TRAP_HANDLER: 0
; COMPUTE_PGM_RSRC2:TGID_X_EN: 1
; COMPUTE_PGM_RSRC2:TGID_Y_EN: 0
; COMPUTE_PGM_RSRC2:TGID_Z_EN: 0
; COMPUTE_PGM_RSRC2:TIDIG_COMP_CNT: 0
	.section	.text._ZN7rocprim17ROCPRIM_400000_NS6detail17trampoline_kernelINS0_14default_configENS1_21merge_config_selectorIiNS0_10empty_typeEEEZNS1_10merge_implIS3_N6thrust23THRUST_200600_302600_NS6detail15normal_iteratorINS9_10device_ptrIKiEEEESF_NSB_INSC_IiEEEEPS5_SI_SI_NS9_4lessIiEEEE10hipError_tPvRmT0_T1_T2_T3_T4_T5_mmT6_P12ihipStream_tbEUlT_E0_NS1_11comp_targetILNS1_3genE5ELNS1_11target_archE942ELNS1_3gpuE9ELNS1_3repE0EEENS1_30default_config_static_selectorELNS0_4arch9wavefront6targetE1EEEvSP_,"axG",@progbits,_ZN7rocprim17ROCPRIM_400000_NS6detail17trampoline_kernelINS0_14default_configENS1_21merge_config_selectorIiNS0_10empty_typeEEEZNS1_10merge_implIS3_N6thrust23THRUST_200600_302600_NS6detail15normal_iteratorINS9_10device_ptrIKiEEEESF_NSB_INSC_IiEEEEPS5_SI_SI_NS9_4lessIiEEEE10hipError_tPvRmT0_T1_T2_T3_T4_T5_mmT6_P12ihipStream_tbEUlT_E0_NS1_11comp_targetILNS1_3genE5ELNS1_11target_archE942ELNS1_3gpuE9ELNS1_3repE0EEENS1_30default_config_static_selectorELNS0_4arch9wavefront6targetE1EEEvSP_,comdat
	.protected	_ZN7rocprim17ROCPRIM_400000_NS6detail17trampoline_kernelINS0_14default_configENS1_21merge_config_selectorIiNS0_10empty_typeEEEZNS1_10merge_implIS3_N6thrust23THRUST_200600_302600_NS6detail15normal_iteratorINS9_10device_ptrIKiEEEESF_NSB_INSC_IiEEEEPS5_SI_SI_NS9_4lessIiEEEE10hipError_tPvRmT0_T1_T2_T3_T4_T5_mmT6_P12ihipStream_tbEUlT_E0_NS1_11comp_targetILNS1_3genE5ELNS1_11target_archE942ELNS1_3gpuE9ELNS1_3repE0EEENS1_30default_config_static_selectorELNS0_4arch9wavefront6targetE1EEEvSP_ ; -- Begin function _ZN7rocprim17ROCPRIM_400000_NS6detail17trampoline_kernelINS0_14default_configENS1_21merge_config_selectorIiNS0_10empty_typeEEEZNS1_10merge_implIS3_N6thrust23THRUST_200600_302600_NS6detail15normal_iteratorINS9_10device_ptrIKiEEEESF_NSB_INSC_IiEEEEPS5_SI_SI_NS9_4lessIiEEEE10hipError_tPvRmT0_T1_T2_T3_T4_T5_mmT6_P12ihipStream_tbEUlT_E0_NS1_11comp_targetILNS1_3genE5ELNS1_11target_archE942ELNS1_3gpuE9ELNS1_3repE0EEENS1_30default_config_static_selectorELNS0_4arch9wavefront6targetE1EEEvSP_
	.globl	_ZN7rocprim17ROCPRIM_400000_NS6detail17trampoline_kernelINS0_14default_configENS1_21merge_config_selectorIiNS0_10empty_typeEEEZNS1_10merge_implIS3_N6thrust23THRUST_200600_302600_NS6detail15normal_iteratorINS9_10device_ptrIKiEEEESF_NSB_INSC_IiEEEEPS5_SI_SI_NS9_4lessIiEEEE10hipError_tPvRmT0_T1_T2_T3_T4_T5_mmT6_P12ihipStream_tbEUlT_E0_NS1_11comp_targetILNS1_3genE5ELNS1_11target_archE942ELNS1_3gpuE9ELNS1_3repE0EEENS1_30default_config_static_selectorELNS0_4arch9wavefront6targetE1EEEvSP_
	.p2align	8
	.type	_ZN7rocprim17ROCPRIM_400000_NS6detail17trampoline_kernelINS0_14default_configENS1_21merge_config_selectorIiNS0_10empty_typeEEEZNS1_10merge_implIS3_N6thrust23THRUST_200600_302600_NS6detail15normal_iteratorINS9_10device_ptrIKiEEEESF_NSB_INSC_IiEEEEPS5_SI_SI_NS9_4lessIiEEEE10hipError_tPvRmT0_T1_T2_T3_T4_T5_mmT6_P12ihipStream_tbEUlT_E0_NS1_11comp_targetILNS1_3genE5ELNS1_11target_archE942ELNS1_3gpuE9ELNS1_3repE0EEENS1_30default_config_static_selectorELNS0_4arch9wavefront6targetE1EEEvSP_,@function
_ZN7rocprim17ROCPRIM_400000_NS6detail17trampoline_kernelINS0_14default_configENS1_21merge_config_selectorIiNS0_10empty_typeEEEZNS1_10merge_implIS3_N6thrust23THRUST_200600_302600_NS6detail15normal_iteratorINS9_10device_ptrIKiEEEESF_NSB_INSC_IiEEEEPS5_SI_SI_NS9_4lessIiEEEE10hipError_tPvRmT0_T1_T2_T3_T4_T5_mmT6_P12ihipStream_tbEUlT_E0_NS1_11comp_targetILNS1_3genE5ELNS1_11target_archE942ELNS1_3gpuE9ELNS1_3repE0EEENS1_30default_config_static_selectorELNS0_4arch9wavefront6targetE1EEEvSP_: ; @_ZN7rocprim17ROCPRIM_400000_NS6detail17trampoline_kernelINS0_14default_configENS1_21merge_config_selectorIiNS0_10empty_typeEEEZNS1_10merge_implIS3_N6thrust23THRUST_200600_302600_NS6detail15normal_iteratorINS9_10device_ptrIKiEEEESF_NSB_INSC_IiEEEEPS5_SI_SI_NS9_4lessIiEEEE10hipError_tPvRmT0_T1_T2_T3_T4_T5_mmT6_P12ihipStream_tbEUlT_E0_NS1_11comp_targetILNS1_3genE5ELNS1_11target_archE942ELNS1_3gpuE9ELNS1_3repE0EEENS1_30default_config_static_selectorELNS0_4arch9wavefront6targetE1EEEvSP_
; %bb.0:
	.section	.rodata,"a",@progbits
	.p2align	6, 0x0
	.amdhsa_kernel _ZN7rocprim17ROCPRIM_400000_NS6detail17trampoline_kernelINS0_14default_configENS1_21merge_config_selectorIiNS0_10empty_typeEEEZNS1_10merge_implIS3_N6thrust23THRUST_200600_302600_NS6detail15normal_iteratorINS9_10device_ptrIKiEEEESF_NSB_INSC_IiEEEEPS5_SI_SI_NS9_4lessIiEEEE10hipError_tPvRmT0_T1_T2_T3_T4_T5_mmT6_P12ihipStream_tbEUlT_E0_NS1_11comp_targetILNS1_3genE5ELNS1_11target_archE942ELNS1_3gpuE9ELNS1_3repE0EEENS1_30default_config_static_selectorELNS0_4arch9wavefront6targetE1EEEvSP_
		.amdhsa_group_segment_fixed_size 0
		.amdhsa_private_segment_fixed_size 0
		.amdhsa_kernarg_size 88
		.amdhsa_user_sgpr_count 6
		.amdhsa_user_sgpr_private_segment_buffer 1
		.amdhsa_user_sgpr_dispatch_ptr 0
		.amdhsa_user_sgpr_queue_ptr 0
		.amdhsa_user_sgpr_kernarg_segment_ptr 1
		.amdhsa_user_sgpr_dispatch_id 0
		.amdhsa_user_sgpr_flat_scratch_init 0
		.amdhsa_user_sgpr_private_segment_size 0
		.amdhsa_uses_dynamic_stack 0
		.amdhsa_system_sgpr_private_segment_wavefront_offset 0
		.amdhsa_system_sgpr_workgroup_id_x 1
		.amdhsa_system_sgpr_workgroup_id_y 0
		.amdhsa_system_sgpr_workgroup_id_z 0
		.amdhsa_system_sgpr_workgroup_info 0
		.amdhsa_system_vgpr_workitem_id 0
		.amdhsa_next_free_vgpr 1
		.amdhsa_next_free_sgpr 0
		.amdhsa_reserve_vcc 0
		.amdhsa_reserve_flat_scratch 0
		.amdhsa_float_round_mode_32 0
		.amdhsa_float_round_mode_16_64 0
		.amdhsa_float_denorm_mode_32 3
		.amdhsa_float_denorm_mode_16_64 3
		.amdhsa_dx10_clamp 1
		.amdhsa_ieee_mode 1
		.amdhsa_fp16_overflow 0
		.amdhsa_exception_fp_ieee_invalid_op 0
		.amdhsa_exception_fp_denorm_src 0
		.amdhsa_exception_fp_ieee_div_zero 0
		.amdhsa_exception_fp_ieee_overflow 0
		.amdhsa_exception_fp_ieee_underflow 0
		.amdhsa_exception_fp_ieee_inexact 0
		.amdhsa_exception_int_div_zero 0
	.end_amdhsa_kernel
	.section	.text._ZN7rocprim17ROCPRIM_400000_NS6detail17trampoline_kernelINS0_14default_configENS1_21merge_config_selectorIiNS0_10empty_typeEEEZNS1_10merge_implIS3_N6thrust23THRUST_200600_302600_NS6detail15normal_iteratorINS9_10device_ptrIKiEEEESF_NSB_INSC_IiEEEEPS5_SI_SI_NS9_4lessIiEEEE10hipError_tPvRmT0_T1_T2_T3_T4_T5_mmT6_P12ihipStream_tbEUlT_E0_NS1_11comp_targetILNS1_3genE5ELNS1_11target_archE942ELNS1_3gpuE9ELNS1_3repE0EEENS1_30default_config_static_selectorELNS0_4arch9wavefront6targetE1EEEvSP_,"axG",@progbits,_ZN7rocprim17ROCPRIM_400000_NS6detail17trampoline_kernelINS0_14default_configENS1_21merge_config_selectorIiNS0_10empty_typeEEEZNS1_10merge_implIS3_N6thrust23THRUST_200600_302600_NS6detail15normal_iteratorINS9_10device_ptrIKiEEEESF_NSB_INSC_IiEEEEPS5_SI_SI_NS9_4lessIiEEEE10hipError_tPvRmT0_T1_T2_T3_T4_T5_mmT6_P12ihipStream_tbEUlT_E0_NS1_11comp_targetILNS1_3genE5ELNS1_11target_archE942ELNS1_3gpuE9ELNS1_3repE0EEENS1_30default_config_static_selectorELNS0_4arch9wavefront6targetE1EEEvSP_,comdat
.Lfunc_end11:
	.size	_ZN7rocprim17ROCPRIM_400000_NS6detail17trampoline_kernelINS0_14default_configENS1_21merge_config_selectorIiNS0_10empty_typeEEEZNS1_10merge_implIS3_N6thrust23THRUST_200600_302600_NS6detail15normal_iteratorINS9_10device_ptrIKiEEEESF_NSB_INSC_IiEEEEPS5_SI_SI_NS9_4lessIiEEEE10hipError_tPvRmT0_T1_T2_T3_T4_T5_mmT6_P12ihipStream_tbEUlT_E0_NS1_11comp_targetILNS1_3genE5ELNS1_11target_archE942ELNS1_3gpuE9ELNS1_3repE0EEENS1_30default_config_static_selectorELNS0_4arch9wavefront6targetE1EEEvSP_, .Lfunc_end11-_ZN7rocprim17ROCPRIM_400000_NS6detail17trampoline_kernelINS0_14default_configENS1_21merge_config_selectorIiNS0_10empty_typeEEEZNS1_10merge_implIS3_N6thrust23THRUST_200600_302600_NS6detail15normal_iteratorINS9_10device_ptrIKiEEEESF_NSB_INSC_IiEEEEPS5_SI_SI_NS9_4lessIiEEEE10hipError_tPvRmT0_T1_T2_T3_T4_T5_mmT6_P12ihipStream_tbEUlT_E0_NS1_11comp_targetILNS1_3genE5ELNS1_11target_archE942ELNS1_3gpuE9ELNS1_3repE0EEENS1_30default_config_static_selectorELNS0_4arch9wavefront6targetE1EEEvSP_
                                        ; -- End function
	.set _ZN7rocprim17ROCPRIM_400000_NS6detail17trampoline_kernelINS0_14default_configENS1_21merge_config_selectorIiNS0_10empty_typeEEEZNS1_10merge_implIS3_N6thrust23THRUST_200600_302600_NS6detail15normal_iteratorINS9_10device_ptrIKiEEEESF_NSB_INSC_IiEEEEPS5_SI_SI_NS9_4lessIiEEEE10hipError_tPvRmT0_T1_T2_T3_T4_T5_mmT6_P12ihipStream_tbEUlT_E0_NS1_11comp_targetILNS1_3genE5ELNS1_11target_archE942ELNS1_3gpuE9ELNS1_3repE0EEENS1_30default_config_static_selectorELNS0_4arch9wavefront6targetE1EEEvSP_.num_vgpr, 0
	.set _ZN7rocprim17ROCPRIM_400000_NS6detail17trampoline_kernelINS0_14default_configENS1_21merge_config_selectorIiNS0_10empty_typeEEEZNS1_10merge_implIS3_N6thrust23THRUST_200600_302600_NS6detail15normal_iteratorINS9_10device_ptrIKiEEEESF_NSB_INSC_IiEEEEPS5_SI_SI_NS9_4lessIiEEEE10hipError_tPvRmT0_T1_T2_T3_T4_T5_mmT6_P12ihipStream_tbEUlT_E0_NS1_11comp_targetILNS1_3genE5ELNS1_11target_archE942ELNS1_3gpuE9ELNS1_3repE0EEENS1_30default_config_static_selectorELNS0_4arch9wavefront6targetE1EEEvSP_.num_agpr, 0
	.set _ZN7rocprim17ROCPRIM_400000_NS6detail17trampoline_kernelINS0_14default_configENS1_21merge_config_selectorIiNS0_10empty_typeEEEZNS1_10merge_implIS3_N6thrust23THRUST_200600_302600_NS6detail15normal_iteratorINS9_10device_ptrIKiEEEESF_NSB_INSC_IiEEEEPS5_SI_SI_NS9_4lessIiEEEE10hipError_tPvRmT0_T1_T2_T3_T4_T5_mmT6_P12ihipStream_tbEUlT_E0_NS1_11comp_targetILNS1_3genE5ELNS1_11target_archE942ELNS1_3gpuE9ELNS1_3repE0EEENS1_30default_config_static_selectorELNS0_4arch9wavefront6targetE1EEEvSP_.numbered_sgpr, 0
	.set _ZN7rocprim17ROCPRIM_400000_NS6detail17trampoline_kernelINS0_14default_configENS1_21merge_config_selectorIiNS0_10empty_typeEEEZNS1_10merge_implIS3_N6thrust23THRUST_200600_302600_NS6detail15normal_iteratorINS9_10device_ptrIKiEEEESF_NSB_INSC_IiEEEEPS5_SI_SI_NS9_4lessIiEEEE10hipError_tPvRmT0_T1_T2_T3_T4_T5_mmT6_P12ihipStream_tbEUlT_E0_NS1_11comp_targetILNS1_3genE5ELNS1_11target_archE942ELNS1_3gpuE9ELNS1_3repE0EEENS1_30default_config_static_selectorELNS0_4arch9wavefront6targetE1EEEvSP_.num_named_barrier, 0
	.set _ZN7rocprim17ROCPRIM_400000_NS6detail17trampoline_kernelINS0_14default_configENS1_21merge_config_selectorIiNS0_10empty_typeEEEZNS1_10merge_implIS3_N6thrust23THRUST_200600_302600_NS6detail15normal_iteratorINS9_10device_ptrIKiEEEESF_NSB_INSC_IiEEEEPS5_SI_SI_NS9_4lessIiEEEE10hipError_tPvRmT0_T1_T2_T3_T4_T5_mmT6_P12ihipStream_tbEUlT_E0_NS1_11comp_targetILNS1_3genE5ELNS1_11target_archE942ELNS1_3gpuE9ELNS1_3repE0EEENS1_30default_config_static_selectorELNS0_4arch9wavefront6targetE1EEEvSP_.private_seg_size, 0
	.set _ZN7rocprim17ROCPRIM_400000_NS6detail17trampoline_kernelINS0_14default_configENS1_21merge_config_selectorIiNS0_10empty_typeEEEZNS1_10merge_implIS3_N6thrust23THRUST_200600_302600_NS6detail15normal_iteratorINS9_10device_ptrIKiEEEESF_NSB_INSC_IiEEEEPS5_SI_SI_NS9_4lessIiEEEE10hipError_tPvRmT0_T1_T2_T3_T4_T5_mmT6_P12ihipStream_tbEUlT_E0_NS1_11comp_targetILNS1_3genE5ELNS1_11target_archE942ELNS1_3gpuE9ELNS1_3repE0EEENS1_30default_config_static_selectorELNS0_4arch9wavefront6targetE1EEEvSP_.uses_vcc, 0
	.set _ZN7rocprim17ROCPRIM_400000_NS6detail17trampoline_kernelINS0_14default_configENS1_21merge_config_selectorIiNS0_10empty_typeEEEZNS1_10merge_implIS3_N6thrust23THRUST_200600_302600_NS6detail15normal_iteratorINS9_10device_ptrIKiEEEESF_NSB_INSC_IiEEEEPS5_SI_SI_NS9_4lessIiEEEE10hipError_tPvRmT0_T1_T2_T3_T4_T5_mmT6_P12ihipStream_tbEUlT_E0_NS1_11comp_targetILNS1_3genE5ELNS1_11target_archE942ELNS1_3gpuE9ELNS1_3repE0EEENS1_30default_config_static_selectorELNS0_4arch9wavefront6targetE1EEEvSP_.uses_flat_scratch, 0
	.set _ZN7rocprim17ROCPRIM_400000_NS6detail17trampoline_kernelINS0_14default_configENS1_21merge_config_selectorIiNS0_10empty_typeEEEZNS1_10merge_implIS3_N6thrust23THRUST_200600_302600_NS6detail15normal_iteratorINS9_10device_ptrIKiEEEESF_NSB_INSC_IiEEEEPS5_SI_SI_NS9_4lessIiEEEE10hipError_tPvRmT0_T1_T2_T3_T4_T5_mmT6_P12ihipStream_tbEUlT_E0_NS1_11comp_targetILNS1_3genE5ELNS1_11target_archE942ELNS1_3gpuE9ELNS1_3repE0EEENS1_30default_config_static_selectorELNS0_4arch9wavefront6targetE1EEEvSP_.has_dyn_sized_stack, 0
	.set _ZN7rocprim17ROCPRIM_400000_NS6detail17trampoline_kernelINS0_14default_configENS1_21merge_config_selectorIiNS0_10empty_typeEEEZNS1_10merge_implIS3_N6thrust23THRUST_200600_302600_NS6detail15normal_iteratorINS9_10device_ptrIKiEEEESF_NSB_INSC_IiEEEEPS5_SI_SI_NS9_4lessIiEEEE10hipError_tPvRmT0_T1_T2_T3_T4_T5_mmT6_P12ihipStream_tbEUlT_E0_NS1_11comp_targetILNS1_3genE5ELNS1_11target_archE942ELNS1_3gpuE9ELNS1_3repE0EEENS1_30default_config_static_selectorELNS0_4arch9wavefront6targetE1EEEvSP_.has_recursion, 0
	.set _ZN7rocprim17ROCPRIM_400000_NS6detail17trampoline_kernelINS0_14default_configENS1_21merge_config_selectorIiNS0_10empty_typeEEEZNS1_10merge_implIS3_N6thrust23THRUST_200600_302600_NS6detail15normal_iteratorINS9_10device_ptrIKiEEEESF_NSB_INSC_IiEEEEPS5_SI_SI_NS9_4lessIiEEEE10hipError_tPvRmT0_T1_T2_T3_T4_T5_mmT6_P12ihipStream_tbEUlT_E0_NS1_11comp_targetILNS1_3genE5ELNS1_11target_archE942ELNS1_3gpuE9ELNS1_3repE0EEENS1_30default_config_static_selectorELNS0_4arch9wavefront6targetE1EEEvSP_.has_indirect_call, 0
	.section	.AMDGPU.csdata,"",@progbits
; Kernel info:
; codeLenInByte = 0
; TotalNumSgprs: 4
; NumVgprs: 0
; ScratchSize: 0
; MemoryBound: 0
; FloatMode: 240
; IeeeMode: 1
; LDSByteSize: 0 bytes/workgroup (compile time only)
; SGPRBlocks: 0
; VGPRBlocks: 0
; NumSGPRsForWavesPerEU: 4
; NumVGPRsForWavesPerEU: 1
; Occupancy: 10
; WaveLimiterHint : 0
; COMPUTE_PGM_RSRC2:SCRATCH_EN: 0
; COMPUTE_PGM_RSRC2:USER_SGPR: 6
; COMPUTE_PGM_RSRC2:TRAP_HANDLER: 0
; COMPUTE_PGM_RSRC2:TGID_X_EN: 1
; COMPUTE_PGM_RSRC2:TGID_Y_EN: 0
; COMPUTE_PGM_RSRC2:TGID_Z_EN: 0
; COMPUTE_PGM_RSRC2:TIDIG_COMP_CNT: 0
	.section	.text._ZN7rocprim17ROCPRIM_400000_NS6detail17trampoline_kernelINS0_14default_configENS1_21merge_config_selectorIiNS0_10empty_typeEEEZNS1_10merge_implIS3_N6thrust23THRUST_200600_302600_NS6detail15normal_iteratorINS9_10device_ptrIKiEEEESF_NSB_INSC_IiEEEEPS5_SI_SI_NS9_4lessIiEEEE10hipError_tPvRmT0_T1_T2_T3_T4_T5_mmT6_P12ihipStream_tbEUlT_E0_NS1_11comp_targetILNS1_3genE4ELNS1_11target_archE910ELNS1_3gpuE8ELNS1_3repE0EEENS1_30default_config_static_selectorELNS0_4arch9wavefront6targetE1EEEvSP_,"axG",@progbits,_ZN7rocprim17ROCPRIM_400000_NS6detail17trampoline_kernelINS0_14default_configENS1_21merge_config_selectorIiNS0_10empty_typeEEEZNS1_10merge_implIS3_N6thrust23THRUST_200600_302600_NS6detail15normal_iteratorINS9_10device_ptrIKiEEEESF_NSB_INSC_IiEEEEPS5_SI_SI_NS9_4lessIiEEEE10hipError_tPvRmT0_T1_T2_T3_T4_T5_mmT6_P12ihipStream_tbEUlT_E0_NS1_11comp_targetILNS1_3genE4ELNS1_11target_archE910ELNS1_3gpuE8ELNS1_3repE0EEENS1_30default_config_static_selectorELNS0_4arch9wavefront6targetE1EEEvSP_,comdat
	.protected	_ZN7rocprim17ROCPRIM_400000_NS6detail17trampoline_kernelINS0_14default_configENS1_21merge_config_selectorIiNS0_10empty_typeEEEZNS1_10merge_implIS3_N6thrust23THRUST_200600_302600_NS6detail15normal_iteratorINS9_10device_ptrIKiEEEESF_NSB_INSC_IiEEEEPS5_SI_SI_NS9_4lessIiEEEE10hipError_tPvRmT0_T1_T2_T3_T4_T5_mmT6_P12ihipStream_tbEUlT_E0_NS1_11comp_targetILNS1_3genE4ELNS1_11target_archE910ELNS1_3gpuE8ELNS1_3repE0EEENS1_30default_config_static_selectorELNS0_4arch9wavefront6targetE1EEEvSP_ ; -- Begin function _ZN7rocprim17ROCPRIM_400000_NS6detail17trampoline_kernelINS0_14default_configENS1_21merge_config_selectorIiNS0_10empty_typeEEEZNS1_10merge_implIS3_N6thrust23THRUST_200600_302600_NS6detail15normal_iteratorINS9_10device_ptrIKiEEEESF_NSB_INSC_IiEEEEPS5_SI_SI_NS9_4lessIiEEEE10hipError_tPvRmT0_T1_T2_T3_T4_T5_mmT6_P12ihipStream_tbEUlT_E0_NS1_11comp_targetILNS1_3genE4ELNS1_11target_archE910ELNS1_3gpuE8ELNS1_3repE0EEENS1_30default_config_static_selectorELNS0_4arch9wavefront6targetE1EEEvSP_
	.globl	_ZN7rocprim17ROCPRIM_400000_NS6detail17trampoline_kernelINS0_14default_configENS1_21merge_config_selectorIiNS0_10empty_typeEEEZNS1_10merge_implIS3_N6thrust23THRUST_200600_302600_NS6detail15normal_iteratorINS9_10device_ptrIKiEEEESF_NSB_INSC_IiEEEEPS5_SI_SI_NS9_4lessIiEEEE10hipError_tPvRmT0_T1_T2_T3_T4_T5_mmT6_P12ihipStream_tbEUlT_E0_NS1_11comp_targetILNS1_3genE4ELNS1_11target_archE910ELNS1_3gpuE8ELNS1_3repE0EEENS1_30default_config_static_selectorELNS0_4arch9wavefront6targetE1EEEvSP_
	.p2align	8
	.type	_ZN7rocprim17ROCPRIM_400000_NS6detail17trampoline_kernelINS0_14default_configENS1_21merge_config_selectorIiNS0_10empty_typeEEEZNS1_10merge_implIS3_N6thrust23THRUST_200600_302600_NS6detail15normal_iteratorINS9_10device_ptrIKiEEEESF_NSB_INSC_IiEEEEPS5_SI_SI_NS9_4lessIiEEEE10hipError_tPvRmT0_T1_T2_T3_T4_T5_mmT6_P12ihipStream_tbEUlT_E0_NS1_11comp_targetILNS1_3genE4ELNS1_11target_archE910ELNS1_3gpuE8ELNS1_3repE0EEENS1_30default_config_static_selectorELNS0_4arch9wavefront6targetE1EEEvSP_,@function
_ZN7rocprim17ROCPRIM_400000_NS6detail17trampoline_kernelINS0_14default_configENS1_21merge_config_selectorIiNS0_10empty_typeEEEZNS1_10merge_implIS3_N6thrust23THRUST_200600_302600_NS6detail15normal_iteratorINS9_10device_ptrIKiEEEESF_NSB_INSC_IiEEEEPS5_SI_SI_NS9_4lessIiEEEE10hipError_tPvRmT0_T1_T2_T3_T4_T5_mmT6_P12ihipStream_tbEUlT_E0_NS1_11comp_targetILNS1_3genE4ELNS1_11target_archE910ELNS1_3gpuE8ELNS1_3repE0EEENS1_30default_config_static_selectorELNS0_4arch9wavefront6targetE1EEEvSP_: ; @_ZN7rocprim17ROCPRIM_400000_NS6detail17trampoline_kernelINS0_14default_configENS1_21merge_config_selectorIiNS0_10empty_typeEEEZNS1_10merge_implIS3_N6thrust23THRUST_200600_302600_NS6detail15normal_iteratorINS9_10device_ptrIKiEEEESF_NSB_INSC_IiEEEEPS5_SI_SI_NS9_4lessIiEEEE10hipError_tPvRmT0_T1_T2_T3_T4_T5_mmT6_P12ihipStream_tbEUlT_E0_NS1_11comp_targetILNS1_3genE4ELNS1_11target_archE910ELNS1_3gpuE8ELNS1_3repE0EEENS1_30default_config_static_selectorELNS0_4arch9wavefront6targetE1EEEvSP_
; %bb.0:
	.section	.rodata,"a",@progbits
	.p2align	6, 0x0
	.amdhsa_kernel _ZN7rocprim17ROCPRIM_400000_NS6detail17trampoline_kernelINS0_14default_configENS1_21merge_config_selectorIiNS0_10empty_typeEEEZNS1_10merge_implIS3_N6thrust23THRUST_200600_302600_NS6detail15normal_iteratorINS9_10device_ptrIKiEEEESF_NSB_INSC_IiEEEEPS5_SI_SI_NS9_4lessIiEEEE10hipError_tPvRmT0_T1_T2_T3_T4_T5_mmT6_P12ihipStream_tbEUlT_E0_NS1_11comp_targetILNS1_3genE4ELNS1_11target_archE910ELNS1_3gpuE8ELNS1_3repE0EEENS1_30default_config_static_selectorELNS0_4arch9wavefront6targetE1EEEvSP_
		.amdhsa_group_segment_fixed_size 0
		.amdhsa_private_segment_fixed_size 0
		.amdhsa_kernarg_size 88
		.amdhsa_user_sgpr_count 6
		.amdhsa_user_sgpr_private_segment_buffer 1
		.amdhsa_user_sgpr_dispatch_ptr 0
		.amdhsa_user_sgpr_queue_ptr 0
		.amdhsa_user_sgpr_kernarg_segment_ptr 1
		.amdhsa_user_sgpr_dispatch_id 0
		.amdhsa_user_sgpr_flat_scratch_init 0
		.amdhsa_user_sgpr_private_segment_size 0
		.amdhsa_uses_dynamic_stack 0
		.amdhsa_system_sgpr_private_segment_wavefront_offset 0
		.amdhsa_system_sgpr_workgroup_id_x 1
		.amdhsa_system_sgpr_workgroup_id_y 0
		.amdhsa_system_sgpr_workgroup_id_z 0
		.amdhsa_system_sgpr_workgroup_info 0
		.amdhsa_system_vgpr_workitem_id 0
		.amdhsa_next_free_vgpr 1
		.amdhsa_next_free_sgpr 0
		.amdhsa_reserve_vcc 0
		.amdhsa_reserve_flat_scratch 0
		.amdhsa_float_round_mode_32 0
		.amdhsa_float_round_mode_16_64 0
		.amdhsa_float_denorm_mode_32 3
		.amdhsa_float_denorm_mode_16_64 3
		.amdhsa_dx10_clamp 1
		.amdhsa_ieee_mode 1
		.amdhsa_fp16_overflow 0
		.amdhsa_exception_fp_ieee_invalid_op 0
		.amdhsa_exception_fp_denorm_src 0
		.amdhsa_exception_fp_ieee_div_zero 0
		.amdhsa_exception_fp_ieee_overflow 0
		.amdhsa_exception_fp_ieee_underflow 0
		.amdhsa_exception_fp_ieee_inexact 0
		.amdhsa_exception_int_div_zero 0
	.end_amdhsa_kernel
	.section	.text._ZN7rocprim17ROCPRIM_400000_NS6detail17trampoline_kernelINS0_14default_configENS1_21merge_config_selectorIiNS0_10empty_typeEEEZNS1_10merge_implIS3_N6thrust23THRUST_200600_302600_NS6detail15normal_iteratorINS9_10device_ptrIKiEEEESF_NSB_INSC_IiEEEEPS5_SI_SI_NS9_4lessIiEEEE10hipError_tPvRmT0_T1_T2_T3_T4_T5_mmT6_P12ihipStream_tbEUlT_E0_NS1_11comp_targetILNS1_3genE4ELNS1_11target_archE910ELNS1_3gpuE8ELNS1_3repE0EEENS1_30default_config_static_selectorELNS0_4arch9wavefront6targetE1EEEvSP_,"axG",@progbits,_ZN7rocprim17ROCPRIM_400000_NS6detail17trampoline_kernelINS0_14default_configENS1_21merge_config_selectorIiNS0_10empty_typeEEEZNS1_10merge_implIS3_N6thrust23THRUST_200600_302600_NS6detail15normal_iteratorINS9_10device_ptrIKiEEEESF_NSB_INSC_IiEEEEPS5_SI_SI_NS9_4lessIiEEEE10hipError_tPvRmT0_T1_T2_T3_T4_T5_mmT6_P12ihipStream_tbEUlT_E0_NS1_11comp_targetILNS1_3genE4ELNS1_11target_archE910ELNS1_3gpuE8ELNS1_3repE0EEENS1_30default_config_static_selectorELNS0_4arch9wavefront6targetE1EEEvSP_,comdat
.Lfunc_end12:
	.size	_ZN7rocprim17ROCPRIM_400000_NS6detail17trampoline_kernelINS0_14default_configENS1_21merge_config_selectorIiNS0_10empty_typeEEEZNS1_10merge_implIS3_N6thrust23THRUST_200600_302600_NS6detail15normal_iteratorINS9_10device_ptrIKiEEEESF_NSB_INSC_IiEEEEPS5_SI_SI_NS9_4lessIiEEEE10hipError_tPvRmT0_T1_T2_T3_T4_T5_mmT6_P12ihipStream_tbEUlT_E0_NS1_11comp_targetILNS1_3genE4ELNS1_11target_archE910ELNS1_3gpuE8ELNS1_3repE0EEENS1_30default_config_static_selectorELNS0_4arch9wavefront6targetE1EEEvSP_, .Lfunc_end12-_ZN7rocprim17ROCPRIM_400000_NS6detail17trampoline_kernelINS0_14default_configENS1_21merge_config_selectorIiNS0_10empty_typeEEEZNS1_10merge_implIS3_N6thrust23THRUST_200600_302600_NS6detail15normal_iteratorINS9_10device_ptrIKiEEEESF_NSB_INSC_IiEEEEPS5_SI_SI_NS9_4lessIiEEEE10hipError_tPvRmT0_T1_T2_T3_T4_T5_mmT6_P12ihipStream_tbEUlT_E0_NS1_11comp_targetILNS1_3genE4ELNS1_11target_archE910ELNS1_3gpuE8ELNS1_3repE0EEENS1_30default_config_static_selectorELNS0_4arch9wavefront6targetE1EEEvSP_
                                        ; -- End function
	.set _ZN7rocprim17ROCPRIM_400000_NS6detail17trampoline_kernelINS0_14default_configENS1_21merge_config_selectorIiNS0_10empty_typeEEEZNS1_10merge_implIS3_N6thrust23THRUST_200600_302600_NS6detail15normal_iteratorINS9_10device_ptrIKiEEEESF_NSB_INSC_IiEEEEPS5_SI_SI_NS9_4lessIiEEEE10hipError_tPvRmT0_T1_T2_T3_T4_T5_mmT6_P12ihipStream_tbEUlT_E0_NS1_11comp_targetILNS1_3genE4ELNS1_11target_archE910ELNS1_3gpuE8ELNS1_3repE0EEENS1_30default_config_static_selectorELNS0_4arch9wavefront6targetE1EEEvSP_.num_vgpr, 0
	.set _ZN7rocprim17ROCPRIM_400000_NS6detail17trampoline_kernelINS0_14default_configENS1_21merge_config_selectorIiNS0_10empty_typeEEEZNS1_10merge_implIS3_N6thrust23THRUST_200600_302600_NS6detail15normal_iteratorINS9_10device_ptrIKiEEEESF_NSB_INSC_IiEEEEPS5_SI_SI_NS9_4lessIiEEEE10hipError_tPvRmT0_T1_T2_T3_T4_T5_mmT6_P12ihipStream_tbEUlT_E0_NS1_11comp_targetILNS1_3genE4ELNS1_11target_archE910ELNS1_3gpuE8ELNS1_3repE0EEENS1_30default_config_static_selectorELNS0_4arch9wavefront6targetE1EEEvSP_.num_agpr, 0
	.set _ZN7rocprim17ROCPRIM_400000_NS6detail17trampoline_kernelINS0_14default_configENS1_21merge_config_selectorIiNS0_10empty_typeEEEZNS1_10merge_implIS3_N6thrust23THRUST_200600_302600_NS6detail15normal_iteratorINS9_10device_ptrIKiEEEESF_NSB_INSC_IiEEEEPS5_SI_SI_NS9_4lessIiEEEE10hipError_tPvRmT0_T1_T2_T3_T4_T5_mmT6_P12ihipStream_tbEUlT_E0_NS1_11comp_targetILNS1_3genE4ELNS1_11target_archE910ELNS1_3gpuE8ELNS1_3repE0EEENS1_30default_config_static_selectorELNS0_4arch9wavefront6targetE1EEEvSP_.numbered_sgpr, 0
	.set _ZN7rocprim17ROCPRIM_400000_NS6detail17trampoline_kernelINS0_14default_configENS1_21merge_config_selectorIiNS0_10empty_typeEEEZNS1_10merge_implIS3_N6thrust23THRUST_200600_302600_NS6detail15normal_iteratorINS9_10device_ptrIKiEEEESF_NSB_INSC_IiEEEEPS5_SI_SI_NS9_4lessIiEEEE10hipError_tPvRmT0_T1_T2_T3_T4_T5_mmT6_P12ihipStream_tbEUlT_E0_NS1_11comp_targetILNS1_3genE4ELNS1_11target_archE910ELNS1_3gpuE8ELNS1_3repE0EEENS1_30default_config_static_selectorELNS0_4arch9wavefront6targetE1EEEvSP_.num_named_barrier, 0
	.set _ZN7rocprim17ROCPRIM_400000_NS6detail17trampoline_kernelINS0_14default_configENS1_21merge_config_selectorIiNS0_10empty_typeEEEZNS1_10merge_implIS3_N6thrust23THRUST_200600_302600_NS6detail15normal_iteratorINS9_10device_ptrIKiEEEESF_NSB_INSC_IiEEEEPS5_SI_SI_NS9_4lessIiEEEE10hipError_tPvRmT0_T1_T2_T3_T4_T5_mmT6_P12ihipStream_tbEUlT_E0_NS1_11comp_targetILNS1_3genE4ELNS1_11target_archE910ELNS1_3gpuE8ELNS1_3repE0EEENS1_30default_config_static_selectorELNS0_4arch9wavefront6targetE1EEEvSP_.private_seg_size, 0
	.set _ZN7rocprim17ROCPRIM_400000_NS6detail17trampoline_kernelINS0_14default_configENS1_21merge_config_selectorIiNS0_10empty_typeEEEZNS1_10merge_implIS3_N6thrust23THRUST_200600_302600_NS6detail15normal_iteratorINS9_10device_ptrIKiEEEESF_NSB_INSC_IiEEEEPS5_SI_SI_NS9_4lessIiEEEE10hipError_tPvRmT0_T1_T2_T3_T4_T5_mmT6_P12ihipStream_tbEUlT_E0_NS1_11comp_targetILNS1_3genE4ELNS1_11target_archE910ELNS1_3gpuE8ELNS1_3repE0EEENS1_30default_config_static_selectorELNS0_4arch9wavefront6targetE1EEEvSP_.uses_vcc, 0
	.set _ZN7rocprim17ROCPRIM_400000_NS6detail17trampoline_kernelINS0_14default_configENS1_21merge_config_selectorIiNS0_10empty_typeEEEZNS1_10merge_implIS3_N6thrust23THRUST_200600_302600_NS6detail15normal_iteratorINS9_10device_ptrIKiEEEESF_NSB_INSC_IiEEEEPS5_SI_SI_NS9_4lessIiEEEE10hipError_tPvRmT0_T1_T2_T3_T4_T5_mmT6_P12ihipStream_tbEUlT_E0_NS1_11comp_targetILNS1_3genE4ELNS1_11target_archE910ELNS1_3gpuE8ELNS1_3repE0EEENS1_30default_config_static_selectorELNS0_4arch9wavefront6targetE1EEEvSP_.uses_flat_scratch, 0
	.set _ZN7rocprim17ROCPRIM_400000_NS6detail17trampoline_kernelINS0_14default_configENS1_21merge_config_selectorIiNS0_10empty_typeEEEZNS1_10merge_implIS3_N6thrust23THRUST_200600_302600_NS6detail15normal_iteratorINS9_10device_ptrIKiEEEESF_NSB_INSC_IiEEEEPS5_SI_SI_NS9_4lessIiEEEE10hipError_tPvRmT0_T1_T2_T3_T4_T5_mmT6_P12ihipStream_tbEUlT_E0_NS1_11comp_targetILNS1_3genE4ELNS1_11target_archE910ELNS1_3gpuE8ELNS1_3repE0EEENS1_30default_config_static_selectorELNS0_4arch9wavefront6targetE1EEEvSP_.has_dyn_sized_stack, 0
	.set _ZN7rocprim17ROCPRIM_400000_NS6detail17trampoline_kernelINS0_14default_configENS1_21merge_config_selectorIiNS0_10empty_typeEEEZNS1_10merge_implIS3_N6thrust23THRUST_200600_302600_NS6detail15normal_iteratorINS9_10device_ptrIKiEEEESF_NSB_INSC_IiEEEEPS5_SI_SI_NS9_4lessIiEEEE10hipError_tPvRmT0_T1_T2_T3_T4_T5_mmT6_P12ihipStream_tbEUlT_E0_NS1_11comp_targetILNS1_3genE4ELNS1_11target_archE910ELNS1_3gpuE8ELNS1_3repE0EEENS1_30default_config_static_selectorELNS0_4arch9wavefront6targetE1EEEvSP_.has_recursion, 0
	.set _ZN7rocprim17ROCPRIM_400000_NS6detail17trampoline_kernelINS0_14default_configENS1_21merge_config_selectorIiNS0_10empty_typeEEEZNS1_10merge_implIS3_N6thrust23THRUST_200600_302600_NS6detail15normal_iteratorINS9_10device_ptrIKiEEEESF_NSB_INSC_IiEEEEPS5_SI_SI_NS9_4lessIiEEEE10hipError_tPvRmT0_T1_T2_T3_T4_T5_mmT6_P12ihipStream_tbEUlT_E0_NS1_11comp_targetILNS1_3genE4ELNS1_11target_archE910ELNS1_3gpuE8ELNS1_3repE0EEENS1_30default_config_static_selectorELNS0_4arch9wavefront6targetE1EEEvSP_.has_indirect_call, 0
	.section	.AMDGPU.csdata,"",@progbits
; Kernel info:
; codeLenInByte = 0
; TotalNumSgprs: 4
; NumVgprs: 0
; ScratchSize: 0
; MemoryBound: 0
; FloatMode: 240
; IeeeMode: 1
; LDSByteSize: 0 bytes/workgroup (compile time only)
; SGPRBlocks: 0
; VGPRBlocks: 0
; NumSGPRsForWavesPerEU: 4
; NumVGPRsForWavesPerEU: 1
; Occupancy: 10
; WaveLimiterHint : 0
; COMPUTE_PGM_RSRC2:SCRATCH_EN: 0
; COMPUTE_PGM_RSRC2:USER_SGPR: 6
; COMPUTE_PGM_RSRC2:TRAP_HANDLER: 0
; COMPUTE_PGM_RSRC2:TGID_X_EN: 1
; COMPUTE_PGM_RSRC2:TGID_Y_EN: 0
; COMPUTE_PGM_RSRC2:TGID_Z_EN: 0
; COMPUTE_PGM_RSRC2:TIDIG_COMP_CNT: 0
	.section	.text._ZN7rocprim17ROCPRIM_400000_NS6detail17trampoline_kernelINS0_14default_configENS1_21merge_config_selectorIiNS0_10empty_typeEEEZNS1_10merge_implIS3_N6thrust23THRUST_200600_302600_NS6detail15normal_iteratorINS9_10device_ptrIKiEEEESF_NSB_INSC_IiEEEEPS5_SI_SI_NS9_4lessIiEEEE10hipError_tPvRmT0_T1_T2_T3_T4_T5_mmT6_P12ihipStream_tbEUlT_E0_NS1_11comp_targetILNS1_3genE3ELNS1_11target_archE908ELNS1_3gpuE7ELNS1_3repE0EEENS1_30default_config_static_selectorELNS0_4arch9wavefront6targetE1EEEvSP_,"axG",@progbits,_ZN7rocprim17ROCPRIM_400000_NS6detail17trampoline_kernelINS0_14default_configENS1_21merge_config_selectorIiNS0_10empty_typeEEEZNS1_10merge_implIS3_N6thrust23THRUST_200600_302600_NS6detail15normal_iteratorINS9_10device_ptrIKiEEEESF_NSB_INSC_IiEEEEPS5_SI_SI_NS9_4lessIiEEEE10hipError_tPvRmT0_T1_T2_T3_T4_T5_mmT6_P12ihipStream_tbEUlT_E0_NS1_11comp_targetILNS1_3genE3ELNS1_11target_archE908ELNS1_3gpuE7ELNS1_3repE0EEENS1_30default_config_static_selectorELNS0_4arch9wavefront6targetE1EEEvSP_,comdat
	.protected	_ZN7rocprim17ROCPRIM_400000_NS6detail17trampoline_kernelINS0_14default_configENS1_21merge_config_selectorIiNS0_10empty_typeEEEZNS1_10merge_implIS3_N6thrust23THRUST_200600_302600_NS6detail15normal_iteratorINS9_10device_ptrIKiEEEESF_NSB_INSC_IiEEEEPS5_SI_SI_NS9_4lessIiEEEE10hipError_tPvRmT0_T1_T2_T3_T4_T5_mmT6_P12ihipStream_tbEUlT_E0_NS1_11comp_targetILNS1_3genE3ELNS1_11target_archE908ELNS1_3gpuE7ELNS1_3repE0EEENS1_30default_config_static_selectorELNS0_4arch9wavefront6targetE1EEEvSP_ ; -- Begin function _ZN7rocprim17ROCPRIM_400000_NS6detail17trampoline_kernelINS0_14default_configENS1_21merge_config_selectorIiNS0_10empty_typeEEEZNS1_10merge_implIS3_N6thrust23THRUST_200600_302600_NS6detail15normal_iteratorINS9_10device_ptrIKiEEEESF_NSB_INSC_IiEEEEPS5_SI_SI_NS9_4lessIiEEEE10hipError_tPvRmT0_T1_T2_T3_T4_T5_mmT6_P12ihipStream_tbEUlT_E0_NS1_11comp_targetILNS1_3genE3ELNS1_11target_archE908ELNS1_3gpuE7ELNS1_3repE0EEENS1_30default_config_static_selectorELNS0_4arch9wavefront6targetE1EEEvSP_
	.globl	_ZN7rocprim17ROCPRIM_400000_NS6detail17trampoline_kernelINS0_14default_configENS1_21merge_config_selectorIiNS0_10empty_typeEEEZNS1_10merge_implIS3_N6thrust23THRUST_200600_302600_NS6detail15normal_iteratorINS9_10device_ptrIKiEEEESF_NSB_INSC_IiEEEEPS5_SI_SI_NS9_4lessIiEEEE10hipError_tPvRmT0_T1_T2_T3_T4_T5_mmT6_P12ihipStream_tbEUlT_E0_NS1_11comp_targetILNS1_3genE3ELNS1_11target_archE908ELNS1_3gpuE7ELNS1_3repE0EEENS1_30default_config_static_selectorELNS0_4arch9wavefront6targetE1EEEvSP_
	.p2align	8
	.type	_ZN7rocprim17ROCPRIM_400000_NS6detail17trampoline_kernelINS0_14default_configENS1_21merge_config_selectorIiNS0_10empty_typeEEEZNS1_10merge_implIS3_N6thrust23THRUST_200600_302600_NS6detail15normal_iteratorINS9_10device_ptrIKiEEEESF_NSB_INSC_IiEEEEPS5_SI_SI_NS9_4lessIiEEEE10hipError_tPvRmT0_T1_T2_T3_T4_T5_mmT6_P12ihipStream_tbEUlT_E0_NS1_11comp_targetILNS1_3genE3ELNS1_11target_archE908ELNS1_3gpuE7ELNS1_3repE0EEENS1_30default_config_static_selectorELNS0_4arch9wavefront6targetE1EEEvSP_,@function
_ZN7rocprim17ROCPRIM_400000_NS6detail17trampoline_kernelINS0_14default_configENS1_21merge_config_selectorIiNS0_10empty_typeEEEZNS1_10merge_implIS3_N6thrust23THRUST_200600_302600_NS6detail15normal_iteratorINS9_10device_ptrIKiEEEESF_NSB_INSC_IiEEEEPS5_SI_SI_NS9_4lessIiEEEE10hipError_tPvRmT0_T1_T2_T3_T4_T5_mmT6_P12ihipStream_tbEUlT_E0_NS1_11comp_targetILNS1_3genE3ELNS1_11target_archE908ELNS1_3gpuE7ELNS1_3repE0EEENS1_30default_config_static_selectorELNS0_4arch9wavefront6targetE1EEEvSP_: ; @_ZN7rocprim17ROCPRIM_400000_NS6detail17trampoline_kernelINS0_14default_configENS1_21merge_config_selectorIiNS0_10empty_typeEEEZNS1_10merge_implIS3_N6thrust23THRUST_200600_302600_NS6detail15normal_iteratorINS9_10device_ptrIKiEEEESF_NSB_INSC_IiEEEEPS5_SI_SI_NS9_4lessIiEEEE10hipError_tPvRmT0_T1_T2_T3_T4_T5_mmT6_P12ihipStream_tbEUlT_E0_NS1_11comp_targetILNS1_3genE3ELNS1_11target_archE908ELNS1_3gpuE7ELNS1_3repE0EEENS1_30default_config_static_selectorELNS0_4arch9wavefront6targetE1EEEvSP_
; %bb.0:
	.section	.rodata,"a",@progbits
	.p2align	6, 0x0
	.amdhsa_kernel _ZN7rocprim17ROCPRIM_400000_NS6detail17trampoline_kernelINS0_14default_configENS1_21merge_config_selectorIiNS0_10empty_typeEEEZNS1_10merge_implIS3_N6thrust23THRUST_200600_302600_NS6detail15normal_iteratorINS9_10device_ptrIKiEEEESF_NSB_INSC_IiEEEEPS5_SI_SI_NS9_4lessIiEEEE10hipError_tPvRmT0_T1_T2_T3_T4_T5_mmT6_P12ihipStream_tbEUlT_E0_NS1_11comp_targetILNS1_3genE3ELNS1_11target_archE908ELNS1_3gpuE7ELNS1_3repE0EEENS1_30default_config_static_selectorELNS0_4arch9wavefront6targetE1EEEvSP_
		.amdhsa_group_segment_fixed_size 0
		.amdhsa_private_segment_fixed_size 0
		.amdhsa_kernarg_size 88
		.amdhsa_user_sgpr_count 6
		.amdhsa_user_sgpr_private_segment_buffer 1
		.amdhsa_user_sgpr_dispatch_ptr 0
		.amdhsa_user_sgpr_queue_ptr 0
		.amdhsa_user_sgpr_kernarg_segment_ptr 1
		.amdhsa_user_sgpr_dispatch_id 0
		.amdhsa_user_sgpr_flat_scratch_init 0
		.amdhsa_user_sgpr_private_segment_size 0
		.amdhsa_uses_dynamic_stack 0
		.amdhsa_system_sgpr_private_segment_wavefront_offset 0
		.amdhsa_system_sgpr_workgroup_id_x 1
		.amdhsa_system_sgpr_workgroup_id_y 0
		.amdhsa_system_sgpr_workgroup_id_z 0
		.amdhsa_system_sgpr_workgroup_info 0
		.amdhsa_system_vgpr_workitem_id 0
		.amdhsa_next_free_vgpr 1
		.amdhsa_next_free_sgpr 0
		.amdhsa_reserve_vcc 0
		.amdhsa_reserve_flat_scratch 0
		.amdhsa_float_round_mode_32 0
		.amdhsa_float_round_mode_16_64 0
		.amdhsa_float_denorm_mode_32 3
		.amdhsa_float_denorm_mode_16_64 3
		.amdhsa_dx10_clamp 1
		.amdhsa_ieee_mode 1
		.amdhsa_fp16_overflow 0
		.amdhsa_exception_fp_ieee_invalid_op 0
		.amdhsa_exception_fp_denorm_src 0
		.amdhsa_exception_fp_ieee_div_zero 0
		.amdhsa_exception_fp_ieee_overflow 0
		.amdhsa_exception_fp_ieee_underflow 0
		.amdhsa_exception_fp_ieee_inexact 0
		.amdhsa_exception_int_div_zero 0
	.end_amdhsa_kernel
	.section	.text._ZN7rocprim17ROCPRIM_400000_NS6detail17trampoline_kernelINS0_14default_configENS1_21merge_config_selectorIiNS0_10empty_typeEEEZNS1_10merge_implIS3_N6thrust23THRUST_200600_302600_NS6detail15normal_iteratorINS9_10device_ptrIKiEEEESF_NSB_INSC_IiEEEEPS5_SI_SI_NS9_4lessIiEEEE10hipError_tPvRmT0_T1_T2_T3_T4_T5_mmT6_P12ihipStream_tbEUlT_E0_NS1_11comp_targetILNS1_3genE3ELNS1_11target_archE908ELNS1_3gpuE7ELNS1_3repE0EEENS1_30default_config_static_selectorELNS0_4arch9wavefront6targetE1EEEvSP_,"axG",@progbits,_ZN7rocprim17ROCPRIM_400000_NS6detail17trampoline_kernelINS0_14default_configENS1_21merge_config_selectorIiNS0_10empty_typeEEEZNS1_10merge_implIS3_N6thrust23THRUST_200600_302600_NS6detail15normal_iteratorINS9_10device_ptrIKiEEEESF_NSB_INSC_IiEEEEPS5_SI_SI_NS9_4lessIiEEEE10hipError_tPvRmT0_T1_T2_T3_T4_T5_mmT6_P12ihipStream_tbEUlT_E0_NS1_11comp_targetILNS1_3genE3ELNS1_11target_archE908ELNS1_3gpuE7ELNS1_3repE0EEENS1_30default_config_static_selectorELNS0_4arch9wavefront6targetE1EEEvSP_,comdat
.Lfunc_end13:
	.size	_ZN7rocprim17ROCPRIM_400000_NS6detail17trampoline_kernelINS0_14default_configENS1_21merge_config_selectorIiNS0_10empty_typeEEEZNS1_10merge_implIS3_N6thrust23THRUST_200600_302600_NS6detail15normal_iteratorINS9_10device_ptrIKiEEEESF_NSB_INSC_IiEEEEPS5_SI_SI_NS9_4lessIiEEEE10hipError_tPvRmT0_T1_T2_T3_T4_T5_mmT6_P12ihipStream_tbEUlT_E0_NS1_11comp_targetILNS1_3genE3ELNS1_11target_archE908ELNS1_3gpuE7ELNS1_3repE0EEENS1_30default_config_static_selectorELNS0_4arch9wavefront6targetE1EEEvSP_, .Lfunc_end13-_ZN7rocprim17ROCPRIM_400000_NS6detail17trampoline_kernelINS0_14default_configENS1_21merge_config_selectorIiNS0_10empty_typeEEEZNS1_10merge_implIS3_N6thrust23THRUST_200600_302600_NS6detail15normal_iteratorINS9_10device_ptrIKiEEEESF_NSB_INSC_IiEEEEPS5_SI_SI_NS9_4lessIiEEEE10hipError_tPvRmT0_T1_T2_T3_T4_T5_mmT6_P12ihipStream_tbEUlT_E0_NS1_11comp_targetILNS1_3genE3ELNS1_11target_archE908ELNS1_3gpuE7ELNS1_3repE0EEENS1_30default_config_static_selectorELNS0_4arch9wavefront6targetE1EEEvSP_
                                        ; -- End function
	.set _ZN7rocprim17ROCPRIM_400000_NS6detail17trampoline_kernelINS0_14default_configENS1_21merge_config_selectorIiNS0_10empty_typeEEEZNS1_10merge_implIS3_N6thrust23THRUST_200600_302600_NS6detail15normal_iteratorINS9_10device_ptrIKiEEEESF_NSB_INSC_IiEEEEPS5_SI_SI_NS9_4lessIiEEEE10hipError_tPvRmT0_T1_T2_T3_T4_T5_mmT6_P12ihipStream_tbEUlT_E0_NS1_11comp_targetILNS1_3genE3ELNS1_11target_archE908ELNS1_3gpuE7ELNS1_3repE0EEENS1_30default_config_static_selectorELNS0_4arch9wavefront6targetE1EEEvSP_.num_vgpr, 0
	.set _ZN7rocprim17ROCPRIM_400000_NS6detail17trampoline_kernelINS0_14default_configENS1_21merge_config_selectorIiNS0_10empty_typeEEEZNS1_10merge_implIS3_N6thrust23THRUST_200600_302600_NS6detail15normal_iteratorINS9_10device_ptrIKiEEEESF_NSB_INSC_IiEEEEPS5_SI_SI_NS9_4lessIiEEEE10hipError_tPvRmT0_T1_T2_T3_T4_T5_mmT6_P12ihipStream_tbEUlT_E0_NS1_11comp_targetILNS1_3genE3ELNS1_11target_archE908ELNS1_3gpuE7ELNS1_3repE0EEENS1_30default_config_static_selectorELNS0_4arch9wavefront6targetE1EEEvSP_.num_agpr, 0
	.set _ZN7rocprim17ROCPRIM_400000_NS6detail17trampoline_kernelINS0_14default_configENS1_21merge_config_selectorIiNS0_10empty_typeEEEZNS1_10merge_implIS3_N6thrust23THRUST_200600_302600_NS6detail15normal_iteratorINS9_10device_ptrIKiEEEESF_NSB_INSC_IiEEEEPS5_SI_SI_NS9_4lessIiEEEE10hipError_tPvRmT0_T1_T2_T3_T4_T5_mmT6_P12ihipStream_tbEUlT_E0_NS1_11comp_targetILNS1_3genE3ELNS1_11target_archE908ELNS1_3gpuE7ELNS1_3repE0EEENS1_30default_config_static_selectorELNS0_4arch9wavefront6targetE1EEEvSP_.numbered_sgpr, 0
	.set _ZN7rocprim17ROCPRIM_400000_NS6detail17trampoline_kernelINS0_14default_configENS1_21merge_config_selectorIiNS0_10empty_typeEEEZNS1_10merge_implIS3_N6thrust23THRUST_200600_302600_NS6detail15normal_iteratorINS9_10device_ptrIKiEEEESF_NSB_INSC_IiEEEEPS5_SI_SI_NS9_4lessIiEEEE10hipError_tPvRmT0_T1_T2_T3_T4_T5_mmT6_P12ihipStream_tbEUlT_E0_NS1_11comp_targetILNS1_3genE3ELNS1_11target_archE908ELNS1_3gpuE7ELNS1_3repE0EEENS1_30default_config_static_selectorELNS0_4arch9wavefront6targetE1EEEvSP_.num_named_barrier, 0
	.set _ZN7rocprim17ROCPRIM_400000_NS6detail17trampoline_kernelINS0_14default_configENS1_21merge_config_selectorIiNS0_10empty_typeEEEZNS1_10merge_implIS3_N6thrust23THRUST_200600_302600_NS6detail15normal_iteratorINS9_10device_ptrIKiEEEESF_NSB_INSC_IiEEEEPS5_SI_SI_NS9_4lessIiEEEE10hipError_tPvRmT0_T1_T2_T3_T4_T5_mmT6_P12ihipStream_tbEUlT_E0_NS1_11comp_targetILNS1_3genE3ELNS1_11target_archE908ELNS1_3gpuE7ELNS1_3repE0EEENS1_30default_config_static_selectorELNS0_4arch9wavefront6targetE1EEEvSP_.private_seg_size, 0
	.set _ZN7rocprim17ROCPRIM_400000_NS6detail17trampoline_kernelINS0_14default_configENS1_21merge_config_selectorIiNS0_10empty_typeEEEZNS1_10merge_implIS3_N6thrust23THRUST_200600_302600_NS6detail15normal_iteratorINS9_10device_ptrIKiEEEESF_NSB_INSC_IiEEEEPS5_SI_SI_NS9_4lessIiEEEE10hipError_tPvRmT0_T1_T2_T3_T4_T5_mmT6_P12ihipStream_tbEUlT_E0_NS1_11comp_targetILNS1_3genE3ELNS1_11target_archE908ELNS1_3gpuE7ELNS1_3repE0EEENS1_30default_config_static_selectorELNS0_4arch9wavefront6targetE1EEEvSP_.uses_vcc, 0
	.set _ZN7rocprim17ROCPRIM_400000_NS6detail17trampoline_kernelINS0_14default_configENS1_21merge_config_selectorIiNS0_10empty_typeEEEZNS1_10merge_implIS3_N6thrust23THRUST_200600_302600_NS6detail15normal_iteratorINS9_10device_ptrIKiEEEESF_NSB_INSC_IiEEEEPS5_SI_SI_NS9_4lessIiEEEE10hipError_tPvRmT0_T1_T2_T3_T4_T5_mmT6_P12ihipStream_tbEUlT_E0_NS1_11comp_targetILNS1_3genE3ELNS1_11target_archE908ELNS1_3gpuE7ELNS1_3repE0EEENS1_30default_config_static_selectorELNS0_4arch9wavefront6targetE1EEEvSP_.uses_flat_scratch, 0
	.set _ZN7rocprim17ROCPRIM_400000_NS6detail17trampoline_kernelINS0_14default_configENS1_21merge_config_selectorIiNS0_10empty_typeEEEZNS1_10merge_implIS3_N6thrust23THRUST_200600_302600_NS6detail15normal_iteratorINS9_10device_ptrIKiEEEESF_NSB_INSC_IiEEEEPS5_SI_SI_NS9_4lessIiEEEE10hipError_tPvRmT0_T1_T2_T3_T4_T5_mmT6_P12ihipStream_tbEUlT_E0_NS1_11comp_targetILNS1_3genE3ELNS1_11target_archE908ELNS1_3gpuE7ELNS1_3repE0EEENS1_30default_config_static_selectorELNS0_4arch9wavefront6targetE1EEEvSP_.has_dyn_sized_stack, 0
	.set _ZN7rocprim17ROCPRIM_400000_NS6detail17trampoline_kernelINS0_14default_configENS1_21merge_config_selectorIiNS0_10empty_typeEEEZNS1_10merge_implIS3_N6thrust23THRUST_200600_302600_NS6detail15normal_iteratorINS9_10device_ptrIKiEEEESF_NSB_INSC_IiEEEEPS5_SI_SI_NS9_4lessIiEEEE10hipError_tPvRmT0_T1_T2_T3_T4_T5_mmT6_P12ihipStream_tbEUlT_E0_NS1_11comp_targetILNS1_3genE3ELNS1_11target_archE908ELNS1_3gpuE7ELNS1_3repE0EEENS1_30default_config_static_selectorELNS0_4arch9wavefront6targetE1EEEvSP_.has_recursion, 0
	.set _ZN7rocprim17ROCPRIM_400000_NS6detail17trampoline_kernelINS0_14default_configENS1_21merge_config_selectorIiNS0_10empty_typeEEEZNS1_10merge_implIS3_N6thrust23THRUST_200600_302600_NS6detail15normal_iteratorINS9_10device_ptrIKiEEEESF_NSB_INSC_IiEEEEPS5_SI_SI_NS9_4lessIiEEEE10hipError_tPvRmT0_T1_T2_T3_T4_T5_mmT6_P12ihipStream_tbEUlT_E0_NS1_11comp_targetILNS1_3genE3ELNS1_11target_archE908ELNS1_3gpuE7ELNS1_3repE0EEENS1_30default_config_static_selectorELNS0_4arch9wavefront6targetE1EEEvSP_.has_indirect_call, 0
	.section	.AMDGPU.csdata,"",@progbits
; Kernel info:
; codeLenInByte = 0
; TotalNumSgprs: 4
; NumVgprs: 0
; ScratchSize: 0
; MemoryBound: 0
; FloatMode: 240
; IeeeMode: 1
; LDSByteSize: 0 bytes/workgroup (compile time only)
; SGPRBlocks: 0
; VGPRBlocks: 0
; NumSGPRsForWavesPerEU: 4
; NumVGPRsForWavesPerEU: 1
; Occupancy: 10
; WaveLimiterHint : 0
; COMPUTE_PGM_RSRC2:SCRATCH_EN: 0
; COMPUTE_PGM_RSRC2:USER_SGPR: 6
; COMPUTE_PGM_RSRC2:TRAP_HANDLER: 0
; COMPUTE_PGM_RSRC2:TGID_X_EN: 1
; COMPUTE_PGM_RSRC2:TGID_Y_EN: 0
; COMPUTE_PGM_RSRC2:TGID_Z_EN: 0
; COMPUTE_PGM_RSRC2:TIDIG_COMP_CNT: 0
	.section	.text._ZN7rocprim17ROCPRIM_400000_NS6detail17trampoline_kernelINS0_14default_configENS1_21merge_config_selectorIiNS0_10empty_typeEEEZNS1_10merge_implIS3_N6thrust23THRUST_200600_302600_NS6detail15normal_iteratorINS9_10device_ptrIKiEEEESF_NSB_INSC_IiEEEEPS5_SI_SI_NS9_4lessIiEEEE10hipError_tPvRmT0_T1_T2_T3_T4_T5_mmT6_P12ihipStream_tbEUlT_E0_NS1_11comp_targetILNS1_3genE2ELNS1_11target_archE906ELNS1_3gpuE6ELNS1_3repE0EEENS1_30default_config_static_selectorELNS0_4arch9wavefront6targetE1EEEvSP_,"axG",@progbits,_ZN7rocprim17ROCPRIM_400000_NS6detail17trampoline_kernelINS0_14default_configENS1_21merge_config_selectorIiNS0_10empty_typeEEEZNS1_10merge_implIS3_N6thrust23THRUST_200600_302600_NS6detail15normal_iteratorINS9_10device_ptrIKiEEEESF_NSB_INSC_IiEEEEPS5_SI_SI_NS9_4lessIiEEEE10hipError_tPvRmT0_T1_T2_T3_T4_T5_mmT6_P12ihipStream_tbEUlT_E0_NS1_11comp_targetILNS1_3genE2ELNS1_11target_archE906ELNS1_3gpuE6ELNS1_3repE0EEENS1_30default_config_static_selectorELNS0_4arch9wavefront6targetE1EEEvSP_,comdat
	.protected	_ZN7rocprim17ROCPRIM_400000_NS6detail17trampoline_kernelINS0_14default_configENS1_21merge_config_selectorIiNS0_10empty_typeEEEZNS1_10merge_implIS3_N6thrust23THRUST_200600_302600_NS6detail15normal_iteratorINS9_10device_ptrIKiEEEESF_NSB_INSC_IiEEEEPS5_SI_SI_NS9_4lessIiEEEE10hipError_tPvRmT0_T1_T2_T3_T4_T5_mmT6_P12ihipStream_tbEUlT_E0_NS1_11comp_targetILNS1_3genE2ELNS1_11target_archE906ELNS1_3gpuE6ELNS1_3repE0EEENS1_30default_config_static_selectorELNS0_4arch9wavefront6targetE1EEEvSP_ ; -- Begin function _ZN7rocprim17ROCPRIM_400000_NS6detail17trampoline_kernelINS0_14default_configENS1_21merge_config_selectorIiNS0_10empty_typeEEEZNS1_10merge_implIS3_N6thrust23THRUST_200600_302600_NS6detail15normal_iteratorINS9_10device_ptrIKiEEEESF_NSB_INSC_IiEEEEPS5_SI_SI_NS9_4lessIiEEEE10hipError_tPvRmT0_T1_T2_T3_T4_T5_mmT6_P12ihipStream_tbEUlT_E0_NS1_11comp_targetILNS1_3genE2ELNS1_11target_archE906ELNS1_3gpuE6ELNS1_3repE0EEENS1_30default_config_static_selectorELNS0_4arch9wavefront6targetE1EEEvSP_
	.globl	_ZN7rocprim17ROCPRIM_400000_NS6detail17trampoline_kernelINS0_14default_configENS1_21merge_config_selectorIiNS0_10empty_typeEEEZNS1_10merge_implIS3_N6thrust23THRUST_200600_302600_NS6detail15normal_iteratorINS9_10device_ptrIKiEEEESF_NSB_INSC_IiEEEEPS5_SI_SI_NS9_4lessIiEEEE10hipError_tPvRmT0_T1_T2_T3_T4_T5_mmT6_P12ihipStream_tbEUlT_E0_NS1_11comp_targetILNS1_3genE2ELNS1_11target_archE906ELNS1_3gpuE6ELNS1_3repE0EEENS1_30default_config_static_selectorELNS0_4arch9wavefront6targetE1EEEvSP_
	.p2align	8
	.type	_ZN7rocprim17ROCPRIM_400000_NS6detail17trampoline_kernelINS0_14default_configENS1_21merge_config_selectorIiNS0_10empty_typeEEEZNS1_10merge_implIS3_N6thrust23THRUST_200600_302600_NS6detail15normal_iteratorINS9_10device_ptrIKiEEEESF_NSB_INSC_IiEEEEPS5_SI_SI_NS9_4lessIiEEEE10hipError_tPvRmT0_T1_T2_T3_T4_T5_mmT6_P12ihipStream_tbEUlT_E0_NS1_11comp_targetILNS1_3genE2ELNS1_11target_archE906ELNS1_3gpuE6ELNS1_3repE0EEENS1_30default_config_static_selectorELNS0_4arch9wavefront6targetE1EEEvSP_,@function
_ZN7rocprim17ROCPRIM_400000_NS6detail17trampoline_kernelINS0_14default_configENS1_21merge_config_selectorIiNS0_10empty_typeEEEZNS1_10merge_implIS3_N6thrust23THRUST_200600_302600_NS6detail15normal_iteratorINS9_10device_ptrIKiEEEESF_NSB_INSC_IiEEEEPS5_SI_SI_NS9_4lessIiEEEE10hipError_tPvRmT0_T1_T2_T3_T4_T5_mmT6_P12ihipStream_tbEUlT_E0_NS1_11comp_targetILNS1_3genE2ELNS1_11target_archE906ELNS1_3gpuE6ELNS1_3repE0EEENS1_30default_config_static_selectorELNS0_4arch9wavefront6targetE1EEEvSP_: ; @_ZN7rocprim17ROCPRIM_400000_NS6detail17trampoline_kernelINS0_14default_configENS1_21merge_config_selectorIiNS0_10empty_typeEEEZNS1_10merge_implIS3_N6thrust23THRUST_200600_302600_NS6detail15normal_iteratorINS9_10device_ptrIKiEEEESF_NSB_INSC_IiEEEEPS5_SI_SI_NS9_4lessIiEEEE10hipError_tPvRmT0_T1_T2_T3_T4_T5_mmT6_P12ihipStream_tbEUlT_E0_NS1_11comp_targetILNS1_3genE2ELNS1_11target_archE906ELNS1_3gpuE6ELNS1_3repE0EEENS1_30default_config_static_selectorELNS0_4arch9wavefront6targetE1EEEvSP_
; %bb.0:
	s_load_dwordx4 s[0:3], s[4:5], 0x40
	s_load_dwordx8 s[12:19], s[4:5], 0x8
	s_mul_i32 s20, s6, 0xa00
	s_mov_b32 s5, 0
	s_mov_b32 s7, s5
	s_waitcnt lgkmcnt(0)
	s_add_i32 s21, s2, s0
	s_add_i32 s0, s21, 0x9ff
	s_mul_hi_u32 s0, s0, 0xcccccccd
	s_lshr_b32 s0, s0, 11
	s_min_u32 s1, s6, s0
	s_lshl_b32 s1, s1, 2
	s_load_dword s4, s[12:13], s1 offset:0x0
	s_add_i32 s6, s6, 1
	s_min_u32 s0, s6, s0
	s_lshl_b32 s0, s0, 2
	s_load_dword s8, s[12:13], s0 offset:0x0
	s_add_i32 s0, s20, 0xa00
	s_min_u32 s9, s21, s0
	s_waitcnt lgkmcnt(0)
	s_sub_i32 s6, s20, s4
	s_lshl_b64 s[0:1], s[4:5], 2
	s_add_u32 s0, s14, s0
	s_addc_u32 s1, s15, s1
	s_lshl_b64 s[2:3], s[6:7], 2
	s_add_u32 s2, s16, s2
	s_addc_u32 s3, s17, s3
	s_sub_i32 s22, s8, s4
	s_add_i32 s4, s6, s8
	s_sub_i32 s10, s9, s4
	s_add_u32 s4, s10, s22
	s_addc_u32 s5, 0, 0
	v_mov_b32_e32 v1, 0
	v_cmp_le_u32_e32 vcc, s22, v0
	s_and_saveexec_b64 s[6:7], vcc
	s_xor_b64 s[6:7], exec, s[6:7]
	s_cbranch_execz .LBB14_4
; %bb.1:
	v_cmp_gt_u64_e32 vcc, s[4:5], v[0:1]
	s_and_saveexec_b64 s[8:9], vcc
	s_cbranch_execz .LBB14_3
; %bb.2:
	v_subrev_u32_e32 v1, s22, v0
	v_lshlrev_b32_e32 v1, 2, v1
	global_load_dword v1, v1, s[2:3]
	v_lshlrev_b32_e32 v2, 2, v0
	s_waitcnt vmcnt(0)
	ds_write_b32 v2, v1
.LBB14_3:
	s_or_b64 exec, exec, s[8:9]
.LBB14_4:
	s_or_saveexec_b64 s[6:7], s[6:7]
	v_lshlrev_b32_e32 v22, 2, v0
	s_xor_b64 exec, exec, s[6:7]
	s_cbranch_execz .LBB14_6
; %bb.5:
	global_load_dword v1, v22, s[0:1]
	s_waitcnt vmcnt(0)
	ds_write_b32 v22, v1
.LBB14_6:
	s_or_b64 exec, exec, s[6:7]
	v_or_b32_e32 v1, 0x100, v0
	v_mov_b32_e32 v2, 0
	v_cmp_le_u32_e32 vcc, s22, v1
	s_and_saveexec_b64 s[6:7], vcc
	s_xor_b64 s[6:7], exec, s[6:7]
	s_cbranch_execz .LBB14_10
; %bb.7:
	v_cmp_gt_u64_e32 vcc, s[4:5], v[1:2]
	s_and_saveexec_b64 s[8:9], vcc
	s_cbranch_execz .LBB14_9
; %bb.8:
	v_subrev_co_u32_e32 v2, vcc, s22, v0
	v_subb_co_u32_e64 v3, s[12:13], 0, 0, vcc
	v_lshlrev_b64 v[2:3], 2, v[2:3]
	v_mov_b32_e32 v4, s3
	v_add_co_u32_e32 v2, vcc, s2, v2
	v_addc_co_u32_e32 v3, vcc, v4, v3, vcc
	global_load_dword v2, v[2:3], off offset:1024
	s_waitcnt vmcnt(0)
	ds_write_b32 v22, v2 offset:1024
.LBB14_9:
	s_or_b64 exec, exec, s[8:9]
.LBB14_10:
	s_andn2_saveexec_b64 s[6:7], s[6:7]
	s_cbranch_execz .LBB14_12
; %bb.11:
	global_load_dword v2, v22, s[0:1] offset:1024
	s_waitcnt vmcnt(0)
	ds_write_b32 v22, v2 offset:1024
.LBB14_12:
	s_or_b64 exec, exec, s[6:7]
	v_or_b32_e32 v2, 0x200, v0
	v_mov_b32_e32 v3, 0
	v_cmp_le_u32_e32 vcc, s22, v2
	s_and_saveexec_b64 s[6:7], vcc
	s_xor_b64 s[6:7], exec, s[6:7]
	s_cbranch_execz .LBB14_16
; %bb.13:
	v_cmp_gt_u64_e32 vcc, s[4:5], v[2:3]
	s_and_saveexec_b64 s[8:9], vcc
	s_cbranch_execz .LBB14_15
; %bb.14:
	v_subrev_co_u32_e32 v3, vcc, s22, v0
	v_subb_co_u32_e64 v4, s[12:13], 0, 0, vcc
	v_lshlrev_b64 v[3:4], 2, v[3:4]
	v_mov_b32_e32 v5, s3
	v_add_co_u32_e32 v3, vcc, s2, v3
	v_addc_co_u32_e32 v4, vcc, v5, v4, vcc
	global_load_dword v3, v[3:4], off offset:2048
	s_waitcnt vmcnt(0)
	ds_write_b32 v22, v3 offset:2048
.LBB14_15:
	s_or_b64 exec, exec, s[8:9]
.LBB14_16:
	s_andn2_saveexec_b64 s[6:7], s[6:7]
	s_cbranch_execz .LBB14_18
; %bb.17:
	global_load_dword v3, v22, s[0:1] offset:2048
	s_waitcnt vmcnt(0)
	ds_write_b32 v22, v3 offset:2048
.LBB14_18:
	s_or_b64 exec, exec, s[6:7]
	v_or_b32_e32 v3, 0x300, v0
	v_mov_b32_e32 v4, 0
	v_cmp_le_u32_e32 vcc, s22, v3
	s_and_saveexec_b64 s[6:7], vcc
	s_xor_b64 s[6:7], exec, s[6:7]
	s_cbranch_execz .LBB14_22
; %bb.19:
	v_cmp_gt_u64_e32 vcc, s[4:5], v[3:4]
	s_and_saveexec_b64 s[8:9], vcc
	s_cbranch_execz .LBB14_21
; %bb.20:
	v_subrev_co_u32_e32 v4, vcc, s22, v0
	v_subb_co_u32_e64 v5, s[12:13], 0, 0, vcc
	v_lshlrev_b64 v[4:5], 2, v[4:5]
	v_mov_b32_e32 v6, s3
	v_add_co_u32_e32 v4, vcc, s2, v4
	v_addc_co_u32_e32 v5, vcc, v6, v5, vcc
	global_load_dword v4, v[4:5], off offset:3072
	s_waitcnt vmcnt(0)
	ds_write_b32 v22, v4 offset:3072
.LBB14_21:
	s_or_b64 exec, exec, s[8:9]
.LBB14_22:
	s_andn2_saveexec_b64 s[6:7], s[6:7]
	s_cbranch_execz .LBB14_24
; %bb.23:
	global_load_dword v4, v22, s[0:1] offset:3072
	s_waitcnt vmcnt(0)
	ds_write_b32 v22, v4 offset:3072
.LBB14_24:
	s_or_b64 exec, exec, s[6:7]
	v_or_b32_e32 v4, 0x400, v0
	v_mov_b32_e32 v5, 0
	v_cmp_le_u32_e32 vcc, s22, v4
	s_and_saveexec_b64 s[6:7], vcc
	s_xor_b64 s[6:7], exec, s[6:7]
	s_cbranch_execz .LBB14_28
; %bb.25:
	v_cmp_gt_u64_e32 vcc, s[4:5], v[4:5]
	s_and_saveexec_b64 s[8:9], vcc
	s_cbranch_execz .LBB14_27
; %bb.26:
	v_subrev_u32_e32 v5, s22, v4
	v_lshlrev_b32_e32 v5, 2, v5
	global_load_dword v5, v5, s[2:3]
	s_waitcnt vmcnt(0)
	ds_write_b32 v22, v5 offset:4096
.LBB14_27:
	s_or_b64 exec, exec, s[8:9]
.LBB14_28:
	s_andn2_saveexec_b64 s[6:7], s[6:7]
	s_cbranch_execz .LBB14_30
; %bb.29:
	v_lshlrev_b32_e32 v5, 2, v4
	global_load_dword v5, v5, s[0:1]
	s_waitcnt vmcnt(0)
	ds_write_b32 v22, v5 offset:4096
.LBB14_30:
	s_or_b64 exec, exec, s[6:7]
	v_or_b32_e32 v5, 0x500, v0
	v_mov_b32_e32 v6, 0
	v_cmp_le_u32_e32 vcc, s22, v5
	s_and_saveexec_b64 s[6:7], vcc
	s_xor_b64 s[6:7], exec, s[6:7]
	s_cbranch_execz .LBB14_34
; %bb.31:
	v_cmp_gt_u64_e32 vcc, s[4:5], v[5:6]
	s_and_saveexec_b64 s[8:9], vcc
	s_cbranch_execz .LBB14_33
; %bb.32:
	v_subrev_u32_e32 v6, s22, v5
	v_lshlrev_b32_e32 v6, 2, v6
	global_load_dword v6, v6, s[2:3]
	s_waitcnt vmcnt(0)
	ds_write_b32 v22, v6 offset:5120
.LBB14_33:
	s_or_b64 exec, exec, s[8:9]
.LBB14_34:
	s_andn2_saveexec_b64 s[6:7], s[6:7]
	s_cbranch_execz .LBB14_36
; %bb.35:
	v_lshlrev_b32_e32 v6, 2, v5
	global_load_dword v6, v6, s[0:1]
	s_waitcnt vmcnt(0)
	ds_write_b32 v22, v6 offset:5120
.LBB14_36:
	;; [unrolled: 28-line block ×6, first 2 shown]
	s_or_b64 exec, exec, s[2:3]
	v_mul_u32_u24_e32 v10, 10, v0
	v_sub_u32_e64 v20, v10, s10 clamp
	v_min_u32_e32 v11, s22, v10
	v_cmp_lt_u32_e32 vcc, v20, v11
	s_waitcnt lgkmcnt(0)
	s_barrier
	s_and_saveexec_b64 s[0:1], vcc
	s_cbranch_execz .LBB14_64
; %bb.61:
	v_lshlrev_b32_e32 v12, 2, v10
	v_lshl_add_u32 v12, s22, 2, v12
	s_mov_b64 s[2:3], 0
.LBB14_62:                              ; =>This Inner Loop Header: Depth=1
	v_add_u32_e32 v13, v11, v20
	v_lshrrev_b32_e32 v13, 1, v13
	v_not_b32_e32 v14, v13
	v_lshlrev_b32_e32 v15, 2, v13
	v_lshl_add_u32 v14, v14, 2, v12
	ds_read_b32 v15, v15
	ds_read_b32 v14, v14
	v_add_u32_e32 v16, 1, v13
	s_waitcnt lgkmcnt(0)
	v_cmp_lt_i32_e32 vcc, v14, v15
	v_cndmask_b32_e32 v11, v11, v13, vcc
	v_cndmask_b32_e32 v20, v16, v20, vcc
	v_cmp_ge_u32_e32 vcc, v20, v11
	s_or_b64 s[2:3], vcc, s[2:3]
	s_andn2_b64 exec, exec, s[2:3]
	s_cbranch_execnz .LBB14_62
; %bb.63:
	s_or_b64 exec, exec, s[2:3]
.LBB14_64:
	s_or_b64 exec, exec, s[0:1]
	v_add_u32_e32 v10, s22, v10
	s_add_i32 s23, s10, s22
	v_sub_u32_e32 v21, v10, v20
	v_cmp_ge_u32_e32 vcc, s22, v20
	v_cmp_ge_u32_e64 s[0:1], s23, v21
	s_or_b64 s[0:1], vcc, s[0:1]
	v_mov_b32_e32 v17, 0
	v_mov_b32_e32 v16, 0
	;; [unrolled: 1-line block ×10, first 2 shown]
	s_and_saveexec_b64 s[16:17], s[0:1]
	s_cbranch_execz .LBB14_70
; %bb.65:
	v_cmp_gt_u32_e32 vcc, s22, v20
                                        ; implicit-def: $vgpr10
	s_and_saveexec_b64 s[0:1], vcc
; %bb.66:
	v_lshlrev_b32_e32 v10, 2, v20
	ds_read_b32 v10, v10
; %bb.67:
	s_or_b64 exec, exec, s[0:1]
	v_cmp_le_u32_e64 s[0:1], s23, v21
	v_cmp_gt_u32_e64 s[2:3], s23, v21
                                        ; implicit-def: $vgpr11
	s_and_saveexec_b64 s[4:5], s[2:3]
; %bb.68:
	v_lshlrev_b32_e32 v11, 2, v21
	ds_read_b32 v11, v11
; %bb.69:
	s_or_b64 exec, exec, s[4:5]
	s_waitcnt lgkmcnt(0)
	v_cmp_ge_i32_e64 s[2:3], v11, v10
	s_and_b64 s[2:3], vcc, s[2:3]
	s_or_b64 vcc, s[0:1], s[2:3]
	v_mov_b32_e32 v13, s23
	v_mov_b32_e32 v16, s22
	v_cndmask_b32_e32 v12, v21, v20, vcc
	v_cndmask_b32_e32 v14, v13, v16, vcc
	v_add_u32_e32 v12, 1, v12
	v_add_u32_e32 v14, -1, v14
	v_min_u32_e32 v14, v12, v14
	v_lshlrev_b32_e32 v14, 2, v14
	ds_read_b32 v14, v14
	v_cndmask_b32_e32 v17, v12, v21, vcc
	v_cndmask_b32_e32 v12, v20, v12, vcc
	v_cmp_gt_u32_e64 s[2:3], s22, v12
	v_cmp_le_u32_e64 s[0:1], s23, v17
	s_waitcnt lgkmcnt(0)
	v_cndmask_b32_e32 v15, v14, v11, vcc
	v_cndmask_b32_e32 v14, v10, v14, vcc
	v_cmp_ge_i32_e64 s[4:5], v15, v14
	s_and_b64 s[2:3], s[2:3], s[4:5]
	s_or_b64 s[0:1], s[0:1], s[2:3]
	v_cndmask_b32_e64 v18, v17, v12, s[0:1]
	v_cndmask_b32_e64 v19, v13, v16, s[0:1]
	v_add_u32_e32 v18, 1, v18
	v_add_u32_e32 v19, -1, v19
	v_min_u32_e32 v19, v18, v19
	v_lshlrev_b32_e32 v19, 2, v19
	ds_read_b32 v19, v19
	v_cndmask_b32_e64 v12, v12, v18, s[0:1]
	v_cndmask_b32_e64 v17, v18, v17, s[0:1]
	v_cmp_gt_u32_e64 s[4:5], s22, v12
	v_cmp_le_u32_e64 s[2:3], s23, v17
	s_waitcnt lgkmcnt(0)
	v_cndmask_b32_e64 v20, v19, v15, s[0:1]
	v_cndmask_b32_e64 v19, v14, v19, s[0:1]
	v_cmp_ge_i32_e64 s[6:7], v20, v19
	s_and_b64 s[4:5], s[4:5], s[6:7]
	s_or_b64 s[2:3], s[2:3], s[4:5]
	v_cndmask_b32_e64 v18, v17, v12, s[2:3]
	v_cndmask_b32_e64 v21, v13, v16, s[2:3]
	v_add_u32_e32 v18, 1, v18
	v_add_u32_e32 v21, -1, v21
	v_min_u32_e32 v21, v18, v21
	v_lshlrev_b32_e32 v21, 2, v21
	ds_read_b32 v21, v21
	v_cndmask_b32_e64 v12, v12, v18, s[2:3]
	v_cndmask_b32_e64 v17, v18, v17, s[2:3]
	v_cmp_gt_u32_e64 s[6:7], s22, v12
	v_cmp_le_u32_e64 s[4:5], s23, v17
	s_waitcnt lgkmcnt(0)
	v_cndmask_b32_e64 v23, v21, v20, s[2:3]
	v_cndmask_b32_e64 v21, v19, v21, s[2:3]
	;; [unrolled: 17-line block ×5, first 2 shown]
	v_cmp_ge_i32_e64 s[14:15], v29, v28
	s_and_b64 s[12:13], s[12:13], s[14:15]
	s_or_b64 s[10:11], s[10:11], s[12:13]
	v_cndmask_b32_e64 v18, v17, v12, s[10:11]
	v_cndmask_b32_e64 v30, v13, v16, s[10:11]
	v_add_u32_e32 v18, 1, v18
	v_add_u32_e32 v30, -1, v30
	v_min_u32_e32 v30, v18, v30
	v_lshlrev_b32_e32 v30, 2, v30
	ds_read_b32 v30, v30
	v_cndmask_b32_e64 v17, v18, v17, s[10:11]
	v_cndmask_b32_e64 v18, v12, v18, s[10:11]
	v_cmp_gt_u32_e64 s[12:13], s22, v18
	v_cndmask_b32_e32 v10, v11, v10, vcc
	s_waitcnt lgkmcnt(0)
	v_cndmask_b32_e64 v31, v30, v29, s[10:11]
	v_cndmask_b32_e64 v30, v28, v30, s[10:11]
	v_cmp_ge_i32_e64 s[14:15], v31, v30
	v_cmp_le_u32_e32 vcc, s23, v17
	s_and_b64 s[12:13], s[12:13], s[14:15]
	s_or_b64 vcc, vcc, s[12:13]
	v_cndmask_b32_e32 v11, v17, v18, vcc
	v_cndmask_b32_e32 v12, v13, v16, vcc
	v_add_u32_e32 v32, 1, v11
	v_add_u32_e32 v11, -1, v12
	v_min_u32_e32 v11, v32, v11
	v_lshlrev_b32_e32 v11, 2, v11
	ds_read_b32 v33, v11
	v_cndmask_b32_e64 v11, v15, v14, s[0:1]
	v_cndmask_b32_e64 v14, v20, v19, s[2:3]
	;; [unrolled: 1-line block ×3, first 2 shown]
	v_cndmask_b32_e32 v23, v18, v32, vcc
	s_waitcnt lgkmcnt(0)
	v_cndmask_b32_e32 v20, v33, v31, vcc
	v_cndmask_b32_e32 v21, v30, v33, vcc
	;; [unrolled: 1-line block ×3, first 2 shown]
	v_cmp_gt_u32_e64 s[2:3], s22, v23
	v_cmp_ge_i32_e64 s[4:5], v20, v21
	v_cmp_le_u32_e64 s[0:1], s23, v17
	s_and_b64 s[2:3], s[2:3], s[4:5]
	s_or_b64 s[0:1], s[0:1], s[2:3]
	v_cndmask_b32_e64 v18, v17, v23, s[0:1]
	v_cndmask_b32_e64 v13, v13, v16, s[0:1]
	;; [unrolled: 1-line block ×3, first 2 shown]
	v_add_u32_e32 v24, 1, v18
	v_add_u32_e32 v13, -1, v13
	v_min_u32_e32 v13, v24, v13
	v_lshlrev_b32_e32 v13, 2, v13
	ds_read_b32 v25, v13
	v_cndmask_b32_e64 v16, v20, v21, s[0:1]
	v_cndmask_b32_e64 v23, v23, v24, s[0:1]
	;; [unrolled: 1-line block ×3, first 2 shown]
	v_cndmask_b32_e32 v19, v31, v30, vcc
	s_waitcnt lgkmcnt(0)
	v_cndmask_b32_e64 v20, v25, v20, s[0:1]
	v_cndmask_b32_e64 v21, v21, v25, s[0:1]
	v_cmp_gt_u32_e64 s[0:1], s22, v23
	v_cmp_ge_i32_e64 s[2:3], v20, v21
	v_cmp_le_u32_e32 vcc, s23, v17
	s_and_b64 s[0:1], s[0:1], s[2:3]
	s_or_b64 vcc, vcc, s[0:1]
	v_cndmask_b32_e64 v13, v27, v26, s[8:9]
	v_cndmask_b32_e64 v18, v29, v28, s[10:11]
	v_cndmask_b32_e32 v17, v20, v21, vcc
.LBB14_70:
	s_or_b64 exec, exec, s[16:17]
	s_sub_i32 s6, s21, s20
	s_mov_b32 s21, 0
	s_lshl_b64 s[0:1], s[20:21], 2
	s_add_u32 s0, s18, s0
	v_mul_u32_u24_e32 v20, 40, v0
	s_addc_u32 s1, s19, s1
	s_barrier
	ds_write2_b64 v20, v[10:11], v[14:15] offset1:1
	ds_write2_b64 v20, v[12:13], v[18:19] offset0:2 offset1:3
	ds_write_b64 v20, v[16:17] offset:32
	v_mul_i32_i24_e32 v10, 0xffffffdc, v0
	s_cmpk_gt_u32 s6, 0x9ff
	v_add_u32_e32 v23, v20, v10
	s_waitcnt lgkmcnt(0)
	s_cbranch_scc0 .LBB14_72
; %bb.71:
	s_barrier
	ds_read2st64_b32 v[12:13], v23 offset1:4
	ds_read2st64_b32 v[14:15], v23 offset0:8 offset1:12
	ds_read2st64_b32 v[16:17], v23 offset0:16 offset1:20
	;; [unrolled: 1-line block ×4, first 2 shown]
	v_mov_b32_e32 v20, s1
	v_add_co_u32_e32 v21, vcc, s0, v22
	v_addc_co_u32_e32 v20, vcc, 0, v20, vcc
	s_movk_i32 s2, 0x1000
	s_waitcnt lgkmcnt(4)
	global_store_dword v22, v12, s[0:1]
	global_store_dword v22, v13, s[0:1] offset:1024
	s_waitcnt lgkmcnt(3)
	global_store_dword v22, v14, s[0:1] offset:2048
	global_store_dword v22, v15, s[0:1] offset:3072
	v_add_co_u32_e32 v12, vcc, s2, v21
	v_addc_co_u32_e32 v13, vcc, 0, v20, vcc
	s_waitcnt lgkmcnt(2)
	global_store_dword v[12:13], v16, off
	global_store_dword v[12:13], v17, off offset:1024
	s_waitcnt lgkmcnt(1)
	global_store_dword v[12:13], v18, off offset:2048
	global_store_dword v[12:13], v19, off offset:3072
	v_add_co_u32_e32 v12, vcc, 0x2000, v21
	v_addc_co_u32_e32 v13, vcc, 0, v20, vcc
	s_waitcnt lgkmcnt(0)
	global_store_dword v[12:13], v10, off
	s_mov_b64 s[2:3], -1
	s_cbranch_execz .LBB14_73
	s_branch .LBB14_84
.LBB14_72:
	s_mov_b64 s[2:3], 0
                                        ; implicit-def: $vgpr11
.LBB14_73:
	s_waitcnt vmcnt(0)
	s_barrier
	ds_read2st64_b32 v[20:21], v23 offset0:4 offset1:8
	ds_read2st64_b32 v[18:19], v23 offset0:12 offset1:16
	;; [unrolled: 1-line block ×4, first 2 shown]
	ds_read_b32 v11, v23 offset:9216
	v_mov_b32_e32 v10, s1
	v_add_co_u32_e32 v14, vcc, s0, v22
	v_addc_co_u32_e32 v15, vcc, 0, v10, vcc
	v_cmp_gt_u32_e32 vcc, s6, v0
	s_and_saveexec_b64 s[2:3], vcc
	s_cbranch_execnz .LBB14_87
; %bb.74:
	s_or_b64 exec, exec, s[2:3]
	v_cmp_gt_u32_e32 vcc, s6, v1
	s_and_saveexec_b64 s[2:3], vcc
	s_cbranch_execnz .LBB14_88
.LBB14_75:
	s_or_b64 exec, exec, s[2:3]
	v_cmp_gt_u32_e32 vcc, s6, v2
	s_and_saveexec_b64 s[2:3], vcc
	s_cbranch_execnz .LBB14_89
.LBB14_76:
	s_or_b64 exec, exec, s[2:3]
	v_cmp_gt_u32_e32 vcc, s6, v3
	s_and_saveexec_b64 s[2:3], vcc
	s_cbranch_execnz .LBB14_90
.LBB14_77:
	s_or_b64 exec, exec, s[2:3]
	v_cmp_gt_u32_e32 vcc, s6, v4
	s_and_saveexec_b64 s[2:3], vcc
	s_cbranch_execnz .LBB14_91
.LBB14_78:
	s_or_b64 exec, exec, s[2:3]
	v_cmp_gt_u32_e32 vcc, s6, v5
	s_and_saveexec_b64 s[2:3], vcc
	s_cbranch_execnz .LBB14_92
.LBB14_79:
	s_or_b64 exec, exec, s[2:3]
	v_cmp_gt_u32_e32 vcc, s6, v6
	s_and_saveexec_b64 s[2:3], vcc
	s_cbranch_execnz .LBB14_93
.LBB14_80:
	s_or_b64 exec, exec, s[2:3]
	v_cmp_gt_u32_e32 vcc, s6, v7
	s_and_saveexec_b64 s[2:3], vcc
	s_cbranch_execnz .LBB14_94
.LBB14_81:
	s_or_b64 exec, exec, s[2:3]
	v_cmp_gt_u32_e32 vcc, s6, v8
	s_and_saveexec_b64 s[2:3], vcc
	s_cbranch_execz .LBB14_83
.LBB14_82:
	v_add_co_u32_e32 v0, vcc, 0x2000, v14
	v_addc_co_u32_e32 v1, vcc, 0, v15, vcc
	s_waitcnt lgkmcnt(1)
	global_store_dword v[0:1], v13, off
.LBB14_83:
	s_or_b64 exec, exec, s[2:3]
	v_cmp_gt_u32_e64 s[2:3], s6, v9
.LBB14_84:
	s_and_saveexec_b64 s[4:5], s[2:3]
	s_cbranch_execnz .LBB14_86
; %bb.85:
	s_endpgm
.LBB14_86:
	v_mov_b32_e32 v0, s1
	v_add_co_u32_e32 v1, vcc, s0, v22
	v_addc_co_u32_e32 v2, vcc, 0, v0, vcc
	v_add_co_u32_e32 v0, vcc, 0x2000, v1
	v_addc_co_u32_e32 v1, vcc, 0, v2, vcc
	s_waitcnt lgkmcnt(0)
	global_store_dword v[0:1], v11, off offset:1024
	s_endpgm
.LBB14_87:
	ds_read_b32 v0, v23
	s_waitcnt lgkmcnt(0)
	global_store_dword v[14:15], v0, off
	s_or_b64 exec, exec, s[2:3]
	v_cmp_gt_u32_e32 vcc, s6, v1
	s_and_saveexec_b64 s[2:3], vcc
	s_cbranch_execz .LBB14_75
.LBB14_88:
	s_waitcnt lgkmcnt(4)
	global_store_dword v[14:15], v20, off offset:1024
	s_or_b64 exec, exec, s[2:3]
	v_cmp_gt_u32_e32 vcc, s6, v2
	s_and_saveexec_b64 s[2:3], vcc
	s_cbranch_execz .LBB14_76
.LBB14_89:
	s_waitcnt lgkmcnt(4)
	global_store_dword v[14:15], v21, off offset:2048
	s_or_b64 exec, exec, s[2:3]
	v_cmp_gt_u32_e32 vcc, s6, v3
	s_and_saveexec_b64 s[2:3], vcc
	s_cbranch_execz .LBB14_77
.LBB14_90:
	s_waitcnt lgkmcnt(3)
	global_store_dword v[14:15], v18, off offset:3072
	s_or_b64 exec, exec, s[2:3]
	v_cmp_gt_u32_e32 vcc, s6, v4
	s_and_saveexec_b64 s[2:3], vcc
	s_cbranch_execz .LBB14_78
.LBB14_91:
	v_add_co_u32_e32 v0, vcc, 0x1000, v14
	v_addc_co_u32_e32 v1, vcc, 0, v15, vcc
	s_waitcnt lgkmcnt(3)
	global_store_dword v[0:1], v19, off
	s_or_b64 exec, exec, s[2:3]
	v_cmp_gt_u32_e32 vcc, s6, v5
	s_and_saveexec_b64 s[2:3], vcc
	s_cbranch_execz .LBB14_79
.LBB14_92:
	v_add_co_u32_e32 v0, vcc, 0x1000, v14
	v_addc_co_u32_e32 v1, vcc, 0, v15, vcc
	s_waitcnt lgkmcnt(2)
	global_store_dword v[0:1], v16, off offset:1024
	s_or_b64 exec, exec, s[2:3]
	v_cmp_gt_u32_e32 vcc, s6, v6
	s_and_saveexec_b64 s[2:3], vcc
	s_cbranch_execz .LBB14_80
.LBB14_93:
	v_add_co_u32_e32 v0, vcc, 0x1000, v14
	v_addc_co_u32_e32 v1, vcc, 0, v15, vcc
	s_waitcnt lgkmcnt(2)
	global_store_dword v[0:1], v17, off offset:2048
	s_or_b64 exec, exec, s[2:3]
	v_cmp_gt_u32_e32 vcc, s6, v7
	s_and_saveexec_b64 s[2:3], vcc
	s_cbranch_execz .LBB14_81
.LBB14_94:
	v_add_co_u32_e32 v0, vcc, 0x1000, v14
	v_addc_co_u32_e32 v1, vcc, 0, v15, vcc
	s_waitcnt lgkmcnt(1)
	global_store_dword v[0:1], v12, off offset:3072
	s_or_b64 exec, exec, s[2:3]
	v_cmp_gt_u32_e32 vcc, s6, v8
	s_and_saveexec_b64 s[2:3], vcc
	s_cbranch_execnz .LBB14_82
	s_branch .LBB14_83
	.section	.rodata,"a",@progbits
	.p2align	6, 0x0
	.amdhsa_kernel _ZN7rocprim17ROCPRIM_400000_NS6detail17trampoline_kernelINS0_14default_configENS1_21merge_config_selectorIiNS0_10empty_typeEEEZNS1_10merge_implIS3_N6thrust23THRUST_200600_302600_NS6detail15normal_iteratorINS9_10device_ptrIKiEEEESF_NSB_INSC_IiEEEEPS5_SI_SI_NS9_4lessIiEEEE10hipError_tPvRmT0_T1_T2_T3_T4_T5_mmT6_P12ihipStream_tbEUlT_E0_NS1_11comp_targetILNS1_3genE2ELNS1_11target_archE906ELNS1_3gpuE6ELNS1_3repE0EEENS1_30default_config_static_selectorELNS0_4arch9wavefront6targetE1EEEvSP_
		.amdhsa_group_segment_fixed_size 10256
		.amdhsa_private_segment_fixed_size 0
		.amdhsa_kernarg_size 88
		.amdhsa_user_sgpr_count 6
		.amdhsa_user_sgpr_private_segment_buffer 1
		.amdhsa_user_sgpr_dispatch_ptr 0
		.amdhsa_user_sgpr_queue_ptr 0
		.amdhsa_user_sgpr_kernarg_segment_ptr 1
		.amdhsa_user_sgpr_dispatch_id 0
		.amdhsa_user_sgpr_flat_scratch_init 0
		.amdhsa_user_sgpr_private_segment_size 0
		.amdhsa_uses_dynamic_stack 0
		.amdhsa_system_sgpr_private_segment_wavefront_offset 0
		.amdhsa_system_sgpr_workgroup_id_x 1
		.amdhsa_system_sgpr_workgroup_id_y 0
		.amdhsa_system_sgpr_workgroup_id_z 0
		.amdhsa_system_sgpr_workgroup_info 0
		.amdhsa_system_vgpr_workitem_id 0
		.amdhsa_next_free_vgpr 37
		.amdhsa_next_free_sgpr 93
		.amdhsa_reserve_vcc 1
		.amdhsa_reserve_flat_scratch 0
		.amdhsa_float_round_mode_32 0
		.amdhsa_float_round_mode_16_64 0
		.amdhsa_float_denorm_mode_32 3
		.amdhsa_float_denorm_mode_16_64 3
		.amdhsa_dx10_clamp 1
		.amdhsa_ieee_mode 1
		.amdhsa_fp16_overflow 0
		.amdhsa_exception_fp_ieee_invalid_op 0
		.amdhsa_exception_fp_denorm_src 0
		.amdhsa_exception_fp_ieee_div_zero 0
		.amdhsa_exception_fp_ieee_overflow 0
		.amdhsa_exception_fp_ieee_underflow 0
		.amdhsa_exception_fp_ieee_inexact 0
		.amdhsa_exception_int_div_zero 0
	.end_amdhsa_kernel
	.section	.text._ZN7rocprim17ROCPRIM_400000_NS6detail17trampoline_kernelINS0_14default_configENS1_21merge_config_selectorIiNS0_10empty_typeEEEZNS1_10merge_implIS3_N6thrust23THRUST_200600_302600_NS6detail15normal_iteratorINS9_10device_ptrIKiEEEESF_NSB_INSC_IiEEEEPS5_SI_SI_NS9_4lessIiEEEE10hipError_tPvRmT0_T1_T2_T3_T4_T5_mmT6_P12ihipStream_tbEUlT_E0_NS1_11comp_targetILNS1_3genE2ELNS1_11target_archE906ELNS1_3gpuE6ELNS1_3repE0EEENS1_30default_config_static_selectorELNS0_4arch9wavefront6targetE1EEEvSP_,"axG",@progbits,_ZN7rocprim17ROCPRIM_400000_NS6detail17trampoline_kernelINS0_14default_configENS1_21merge_config_selectorIiNS0_10empty_typeEEEZNS1_10merge_implIS3_N6thrust23THRUST_200600_302600_NS6detail15normal_iteratorINS9_10device_ptrIKiEEEESF_NSB_INSC_IiEEEEPS5_SI_SI_NS9_4lessIiEEEE10hipError_tPvRmT0_T1_T2_T3_T4_T5_mmT6_P12ihipStream_tbEUlT_E0_NS1_11comp_targetILNS1_3genE2ELNS1_11target_archE906ELNS1_3gpuE6ELNS1_3repE0EEENS1_30default_config_static_selectorELNS0_4arch9wavefront6targetE1EEEvSP_,comdat
.Lfunc_end14:
	.size	_ZN7rocprim17ROCPRIM_400000_NS6detail17trampoline_kernelINS0_14default_configENS1_21merge_config_selectorIiNS0_10empty_typeEEEZNS1_10merge_implIS3_N6thrust23THRUST_200600_302600_NS6detail15normal_iteratorINS9_10device_ptrIKiEEEESF_NSB_INSC_IiEEEEPS5_SI_SI_NS9_4lessIiEEEE10hipError_tPvRmT0_T1_T2_T3_T4_T5_mmT6_P12ihipStream_tbEUlT_E0_NS1_11comp_targetILNS1_3genE2ELNS1_11target_archE906ELNS1_3gpuE6ELNS1_3repE0EEENS1_30default_config_static_selectorELNS0_4arch9wavefront6targetE1EEEvSP_, .Lfunc_end14-_ZN7rocprim17ROCPRIM_400000_NS6detail17trampoline_kernelINS0_14default_configENS1_21merge_config_selectorIiNS0_10empty_typeEEEZNS1_10merge_implIS3_N6thrust23THRUST_200600_302600_NS6detail15normal_iteratorINS9_10device_ptrIKiEEEESF_NSB_INSC_IiEEEEPS5_SI_SI_NS9_4lessIiEEEE10hipError_tPvRmT0_T1_T2_T3_T4_T5_mmT6_P12ihipStream_tbEUlT_E0_NS1_11comp_targetILNS1_3genE2ELNS1_11target_archE906ELNS1_3gpuE6ELNS1_3repE0EEENS1_30default_config_static_selectorELNS0_4arch9wavefront6targetE1EEEvSP_
                                        ; -- End function
	.set _ZN7rocprim17ROCPRIM_400000_NS6detail17trampoline_kernelINS0_14default_configENS1_21merge_config_selectorIiNS0_10empty_typeEEEZNS1_10merge_implIS3_N6thrust23THRUST_200600_302600_NS6detail15normal_iteratorINS9_10device_ptrIKiEEEESF_NSB_INSC_IiEEEEPS5_SI_SI_NS9_4lessIiEEEE10hipError_tPvRmT0_T1_T2_T3_T4_T5_mmT6_P12ihipStream_tbEUlT_E0_NS1_11comp_targetILNS1_3genE2ELNS1_11target_archE906ELNS1_3gpuE6ELNS1_3repE0EEENS1_30default_config_static_selectorELNS0_4arch9wavefront6targetE1EEEvSP_.num_vgpr, 34
	.set _ZN7rocprim17ROCPRIM_400000_NS6detail17trampoline_kernelINS0_14default_configENS1_21merge_config_selectorIiNS0_10empty_typeEEEZNS1_10merge_implIS3_N6thrust23THRUST_200600_302600_NS6detail15normal_iteratorINS9_10device_ptrIKiEEEESF_NSB_INSC_IiEEEEPS5_SI_SI_NS9_4lessIiEEEE10hipError_tPvRmT0_T1_T2_T3_T4_T5_mmT6_P12ihipStream_tbEUlT_E0_NS1_11comp_targetILNS1_3genE2ELNS1_11target_archE906ELNS1_3gpuE6ELNS1_3repE0EEENS1_30default_config_static_selectorELNS0_4arch9wavefront6targetE1EEEvSP_.num_agpr, 0
	.set _ZN7rocprim17ROCPRIM_400000_NS6detail17trampoline_kernelINS0_14default_configENS1_21merge_config_selectorIiNS0_10empty_typeEEEZNS1_10merge_implIS3_N6thrust23THRUST_200600_302600_NS6detail15normal_iteratorINS9_10device_ptrIKiEEEESF_NSB_INSC_IiEEEEPS5_SI_SI_NS9_4lessIiEEEE10hipError_tPvRmT0_T1_T2_T3_T4_T5_mmT6_P12ihipStream_tbEUlT_E0_NS1_11comp_targetILNS1_3genE2ELNS1_11target_archE906ELNS1_3gpuE6ELNS1_3repE0EEENS1_30default_config_static_selectorELNS0_4arch9wavefront6targetE1EEEvSP_.numbered_sgpr, 24
	.set _ZN7rocprim17ROCPRIM_400000_NS6detail17trampoline_kernelINS0_14default_configENS1_21merge_config_selectorIiNS0_10empty_typeEEEZNS1_10merge_implIS3_N6thrust23THRUST_200600_302600_NS6detail15normal_iteratorINS9_10device_ptrIKiEEEESF_NSB_INSC_IiEEEEPS5_SI_SI_NS9_4lessIiEEEE10hipError_tPvRmT0_T1_T2_T3_T4_T5_mmT6_P12ihipStream_tbEUlT_E0_NS1_11comp_targetILNS1_3genE2ELNS1_11target_archE906ELNS1_3gpuE6ELNS1_3repE0EEENS1_30default_config_static_selectorELNS0_4arch9wavefront6targetE1EEEvSP_.num_named_barrier, 0
	.set _ZN7rocprim17ROCPRIM_400000_NS6detail17trampoline_kernelINS0_14default_configENS1_21merge_config_selectorIiNS0_10empty_typeEEEZNS1_10merge_implIS3_N6thrust23THRUST_200600_302600_NS6detail15normal_iteratorINS9_10device_ptrIKiEEEESF_NSB_INSC_IiEEEEPS5_SI_SI_NS9_4lessIiEEEE10hipError_tPvRmT0_T1_T2_T3_T4_T5_mmT6_P12ihipStream_tbEUlT_E0_NS1_11comp_targetILNS1_3genE2ELNS1_11target_archE906ELNS1_3gpuE6ELNS1_3repE0EEENS1_30default_config_static_selectorELNS0_4arch9wavefront6targetE1EEEvSP_.private_seg_size, 0
	.set _ZN7rocprim17ROCPRIM_400000_NS6detail17trampoline_kernelINS0_14default_configENS1_21merge_config_selectorIiNS0_10empty_typeEEEZNS1_10merge_implIS3_N6thrust23THRUST_200600_302600_NS6detail15normal_iteratorINS9_10device_ptrIKiEEEESF_NSB_INSC_IiEEEEPS5_SI_SI_NS9_4lessIiEEEE10hipError_tPvRmT0_T1_T2_T3_T4_T5_mmT6_P12ihipStream_tbEUlT_E0_NS1_11comp_targetILNS1_3genE2ELNS1_11target_archE906ELNS1_3gpuE6ELNS1_3repE0EEENS1_30default_config_static_selectorELNS0_4arch9wavefront6targetE1EEEvSP_.uses_vcc, 1
	.set _ZN7rocprim17ROCPRIM_400000_NS6detail17trampoline_kernelINS0_14default_configENS1_21merge_config_selectorIiNS0_10empty_typeEEEZNS1_10merge_implIS3_N6thrust23THRUST_200600_302600_NS6detail15normal_iteratorINS9_10device_ptrIKiEEEESF_NSB_INSC_IiEEEEPS5_SI_SI_NS9_4lessIiEEEE10hipError_tPvRmT0_T1_T2_T3_T4_T5_mmT6_P12ihipStream_tbEUlT_E0_NS1_11comp_targetILNS1_3genE2ELNS1_11target_archE906ELNS1_3gpuE6ELNS1_3repE0EEENS1_30default_config_static_selectorELNS0_4arch9wavefront6targetE1EEEvSP_.uses_flat_scratch, 0
	.set _ZN7rocprim17ROCPRIM_400000_NS6detail17trampoline_kernelINS0_14default_configENS1_21merge_config_selectorIiNS0_10empty_typeEEEZNS1_10merge_implIS3_N6thrust23THRUST_200600_302600_NS6detail15normal_iteratorINS9_10device_ptrIKiEEEESF_NSB_INSC_IiEEEEPS5_SI_SI_NS9_4lessIiEEEE10hipError_tPvRmT0_T1_T2_T3_T4_T5_mmT6_P12ihipStream_tbEUlT_E0_NS1_11comp_targetILNS1_3genE2ELNS1_11target_archE906ELNS1_3gpuE6ELNS1_3repE0EEENS1_30default_config_static_selectorELNS0_4arch9wavefront6targetE1EEEvSP_.has_dyn_sized_stack, 0
	.set _ZN7rocprim17ROCPRIM_400000_NS6detail17trampoline_kernelINS0_14default_configENS1_21merge_config_selectorIiNS0_10empty_typeEEEZNS1_10merge_implIS3_N6thrust23THRUST_200600_302600_NS6detail15normal_iteratorINS9_10device_ptrIKiEEEESF_NSB_INSC_IiEEEEPS5_SI_SI_NS9_4lessIiEEEE10hipError_tPvRmT0_T1_T2_T3_T4_T5_mmT6_P12ihipStream_tbEUlT_E0_NS1_11comp_targetILNS1_3genE2ELNS1_11target_archE906ELNS1_3gpuE6ELNS1_3repE0EEENS1_30default_config_static_selectorELNS0_4arch9wavefront6targetE1EEEvSP_.has_recursion, 0
	.set _ZN7rocprim17ROCPRIM_400000_NS6detail17trampoline_kernelINS0_14default_configENS1_21merge_config_selectorIiNS0_10empty_typeEEEZNS1_10merge_implIS3_N6thrust23THRUST_200600_302600_NS6detail15normal_iteratorINS9_10device_ptrIKiEEEESF_NSB_INSC_IiEEEEPS5_SI_SI_NS9_4lessIiEEEE10hipError_tPvRmT0_T1_T2_T3_T4_T5_mmT6_P12ihipStream_tbEUlT_E0_NS1_11comp_targetILNS1_3genE2ELNS1_11target_archE906ELNS1_3gpuE6ELNS1_3repE0EEENS1_30default_config_static_selectorELNS0_4arch9wavefront6targetE1EEEvSP_.has_indirect_call, 0
	.section	.AMDGPU.csdata,"",@progbits
; Kernel info:
; codeLenInByte = 3424
; TotalNumSgprs: 28
; NumVgprs: 34
; ScratchSize: 0
; MemoryBound: 0
; FloatMode: 240
; IeeeMode: 1
; LDSByteSize: 10256 bytes/workgroup (compile time only)
; SGPRBlocks: 12
; VGPRBlocks: 9
; NumSGPRsForWavesPerEU: 97
; NumVGPRsForWavesPerEU: 37
; Occupancy: 6
; WaveLimiterHint : 1
; COMPUTE_PGM_RSRC2:SCRATCH_EN: 0
; COMPUTE_PGM_RSRC2:USER_SGPR: 6
; COMPUTE_PGM_RSRC2:TRAP_HANDLER: 0
; COMPUTE_PGM_RSRC2:TGID_X_EN: 1
; COMPUTE_PGM_RSRC2:TGID_Y_EN: 0
; COMPUTE_PGM_RSRC2:TGID_Z_EN: 0
; COMPUTE_PGM_RSRC2:TIDIG_COMP_CNT: 0
	.section	.text._ZN7rocprim17ROCPRIM_400000_NS6detail17trampoline_kernelINS0_14default_configENS1_21merge_config_selectorIiNS0_10empty_typeEEEZNS1_10merge_implIS3_N6thrust23THRUST_200600_302600_NS6detail15normal_iteratorINS9_10device_ptrIKiEEEESF_NSB_INSC_IiEEEEPS5_SI_SI_NS9_4lessIiEEEE10hipError_tPvRmT0_T1_T2_T3_T4_T5_mmT6_P12ihipStream_tbEUlT_E0_NS1_11comp_targetILNS1_3genE10ELNS1_11target_archE1201ELNS1_3gpuE5ELNS1_3repE0EEENS1_30default_config_static_selectorELNS0_4arch9wavefront6targetE1EEEvSP_,"axG",@progbits,_ZN7rocprim17ROCPRIM_400000_NS6detail17trampoline_kernelINS0_14default_configENS1_21merge_config_selectorIiNS0_10empty_typeEEEZNS1_10merge_implIS3_N6thrust23THRUST_200600_302600_NS6detail15normal_iteratorINS9_10device_ptrIKiEEEESF_NSB_INSC_IiEEEEPS5_SI_SI_NS9_4lessIiEEEE10hipError_tPvRmT0_T1_T2_T3_T4_T5_mmT6_P12ihipStream_tbEUlT_E0_NS1_11comp_targetILNS1_3genE10ELNS1_11target_archE1201ELNS1_3gpuE5ELNS1_3repE0EEENS1_30default_config_static_selectorELNS0_4arch9wavefront6targetE1EEEvSP_,comdat
	.protected	_ZN7rocprim17ROCPRIM_400000_NS6detail17trampoline_kernelINS0_14default_configENS1_21merge_config_selectorIiNS0_10empty_typeEEEZNS1_10merge_implIS3_N6thrust23THRUST_200600_302600_NS6detail15normal_iteratorINS9_10device_ptrIKiEEEESF_NSB_INSC_IiEEEEPS5_SI_SI_NS9_4lessIiEEEE10hipError_tPvRmT0_T1_T2_T3_T4_T5_mmT6_P12ihipStream_tbEUlT_E0_NS1_11comp_targetILNS1_3genE10ELNS1_11target_archE1201ELNS1_3gpuE5ELNS1_3repE0EEENS1_30default_config_static_selectorELNS0_4arch9wavefront6targetE1EEEvSP_ ; -- Begin function _ZN7rocprim17ROCPRIM_400000_NS6detail17trampoline_kernelINS0_14default_configENS1_21merge_config_selectorIiNS0_10empty_typeEEEZNS1_10merge_implIS3_N6thrust23THRUST_200600_302600_NS6detail15normal_iteratorINS9_10device_ptrIKiEEEESF_NSB_INSC_IiEEEEPS5_SI_SI_NS9_4lessIiEEEE10hipError_tPvRmT0_T1_T2_T3_T4_T5_mmT6_P12ihipStream_tbEUlT_E0_NS1_11comp_targetILNS1_3genE10ELNS1_11target_archE1201ELNS1_3gpuE5ELNS1_3repE0EEENS1_30default_config_static_selectorELNS0_4arch9wavefront6targetE1EEEvSP_
	.globl	_ZN7rocprim17ROCPRIM_400000_NS6detail17trampoline_kernelINS0_14default_configENS1_21merge_config_selectorIiNS0_10empty_typeEEEZNS1_10merge_implIS3_N6thrust23THRUST_200600_302600_NS6detail15normal_iteratorINS9_10device_ptrIKiEEEESF_NSB_INSC_IiEEEEPS5_SI_SI_NS9_4lessIiEEEE10hipError_tPvRmT0_T1_T2_T3_T4_T5_mmT6_P12ihipStream_tbEUlT_E0_NS1_11comp_targetILNS1_3genE10ELNS1_11target_archE1201ELNS1_3gpuE5ELNS1_3repE0EEENS1_30default_config_static_selectorELNS0_4arch9wavefront6targetE1EEEvSP_
	.p2align	8
	.type	_ZN7rocprim17ROCPRIM_400000_NS6detail17trampoline_kernelINS0_14default_configENS1_21merge_config_selectorIiNS0_10empty_typeEEEZNS1_10merge_implIS3_N6thrust23THRUST_200600_302600_NS6detail15normal_iteratorINS9_10device_ptrIKiEEEESF_NSB_INSC_IiEEEEPS5_SI_SI_NS9_4lessIiEEEE10hipError_tPvRmT0_T1_T2_T3_T4_T5_mmT6_P12ihipStream_tbEUlT_E0_NS1_11comp_targetILNS1_3genE10ELNS1_11target_archE1201ELNS1_3gpuE5ELNS1_3repE0EEENS1_30default_config_static_selectorELNS0_4arch9wavefront6targetE1EEEvSP_,@function
_ZN7rocprim17ROCPRIM_400000_NS6detail17trampoline_kernelINS0_14default_configENS1_21merge_config_selectorIiNS0_10empty_typeEEEZNS1_10merge_implIS3_N6thrust23THRUST_200600_302600_NS6detail15normal_iteratorINS9_10device_ptrIKiEEEESF_NSB_INSC_IiEEEEPS5_SI_SI_NS9_4lessIiEEEE10hipError_tPvRmT0_T1_T2_T3_T4_T5_mmT6_P12ihipStream_tbEUlT_E0_NS1_11comp_targetILNS1_3genE10ELNS1_11target_archE1201ELNS1_3gpuE5ELNS1_3repE0EEENS1_30default_config_static_selectorELNS0_4arch9wavefront6targetE1EEEvSP_: ; @_ZN7rocprim17ROCPRIM_400000_NS6detail17trampoline_kernelINS0_14default_configENS1_21merge_config_selectorIiNS0_10empty_typeEEEZNS1_10merge_implIS3_N6thrust23THRUST_200600_302600_NS6detail15normal_iteratorINS9_10device_ptrIKiEEEESF_NSB_INSC_IiEEEEPS5_SI_SI_NS9_4lessIiEEEE10hipError_tPvRmT0_T1_T2_T3_T4_T5_mmT6_P12ihipStream_tbEUlT_E0_NS1_11comp_targetILNS1_3genE10ELNS1_11target_archE1201ELNS1_3gpuE5ELNS1_3repE0EEENS1_30default_config_static_selectorELNS0_4arch9wavefront6targetE1EEEvSP_
; %bb.0:
	.section	.rodata,"a",@progbits
	.p2align	6, 0x0
	.amdhsa_kernel _ZN7rocprim17ROCPRIM_400000_NS6detail17trampoline_kernelINS0_14default_configENS1_21merge_config_selectorIiNS0_10empty_typeEEEZNS1_10merge_implIS3_N6thrust23THRUST_200600_302600_NS6detail15normal_iteratorINS9_10device_ptrIKiEEEESF_NSB_INSC_IiEEEEPS5_SI_SI_NS9_4lessIiEEEE10hipError_tPvRmT0_T1_T2_T3_T4_T5_mmT6_P12ihipStream_tbEUlT_E0_NS1_11comp_targetILNS1_3genE10ELNS1_11target_archE1201ELNS1_3gpuE5ELNS1_3repE0EEENS1_30default_config_static_selectorELNS0_4arch9wavefront6targetE1EEEvSP_
		.amdhsa_group_segment_fixed_size 0
		.amdhsa_private_segment_fixed_size 0
		.amdhsa_kernarg_size 88
		.amdhsa_user_sgpr_count 6
		.amdhsa_user_sgpr_private_segment_buffer 1
		.amdhsa_user_sgpr_dispatch_ptr 0
		.amdhsa_user_sgpr_queue_ptr 0
		.amdhsa_user_sgpr_kernarg_segment_ptr 1
		.amdhsa_user_sgpr_dispatch_id 0
		.amdhsa_user_sgpr_flat_scratch_init 0
		.amdhsa_user_sgpr_private_segment_size 0
		.amdhsa_uses_dynamic_stack 0
		.amdhsa_system_sgpr_private_segment_wavefront_offset 0
		.amdhsa_system_sgpr_workgroup_id_x 1
		.amdhsa_system_sgpr_workgroup_id_y 0
		.amdhsa_system_sgpr_workgroup_id_z 0
		.amdhsa_system_sgpr_workgroup_info 0
		.amdhsa_system_vgpr_workitem_id 0
		.amdhsa_next_free_vgpr 1
		.amdhsa_next_free_sgpr 0
		.amdhsa_reserve_vcc 0
		.amdhsa_reserve_flat_scratch 0
		.amdhsa_float_round_mode_32 0
		.amdhsa_float_round_mode_16_64 0
		.amdhsa_float_denorm_mode_32 3
		.amdhsa_float_denorm_mode_16_64 3
		.amdhsa_dx10_clamp 1
		.amdhsa_ieee_mode 1
		.amdhsa_fp16_overflow 0
		.amdhsa_exception_fp_ieee_invalid_op 0
		.amdhsa_exception_fp_denorm_src 0
		.amdhsa_exception_fp_ieee_div_zero 0
		.amdhsa_exception_fp_ieee_overflow 0
		.amdhsa_exception_fp_ieee_underflow 0
		.amdhsa_exception_fp_ieee_inexact 0
		.amdhsa_exception_int_div_zero 0
	.end_amdhsa_kernel
	.section	.text._ZN7rocprim17ROCPRIM_400000_NS6detail17trampoline_kernelINS0_14default_configENS1_21merge_config_selectorIiNS0_10empty_typeEEEZNS1_10merge_implIS3_N6thrust23THRUST_200600_302600_NS6detail15normal_iteratorINS9_10device_ptrIKiEEEESF_NSB_INSC_IiEEEEPS5_SI_SI_NS9_4lessIiEEEE10hipError_tPvRmT0_T1_T2_T3_T4_T5_mmT6_P12ihipStream_tbEUlT_E0_NS1_11comp_targetILNS1_3genE10ELNS1_11target_archE1201ELNS1_3gpuE5ELNS1_3repE0EEENS1_30default_config_static_selectorELNS0_4arch9wavefront6targetE1EEEvSP_,"axG",@progbits,_ZN7rocprim17ROCPRIM_400000_NS6detail17trampoline_kernelINS0_14default_configENS1_21merge_config_selectorIiNS0_10empty_typeEEEZNS1_10merge_implIS3_N6thrust23THRUST_200600_302600_NS6detail15normal_iteratorINS9_10device_ptrIKiEEEESF_NSB_INSC_IiEEEEPS5_SI_SI_NS9_4lessIiEEEE10hipError_tPvRmT0_T1_T2_T3_T4_T5_mmT6_P12ihipStream_tbEUlT_E0_NS1_11comp_targetILNS1_3genE10ELNS1_11target_archE1201ELNS1_3gpuE5ELNS1_3repE0EEENS1_30default_config_static_selectorELNS0_4arch9wavefront6targetE1EEEvSP_,comdat
.Lfunc_end15:
	.size	_ZN7rocprim17ROCPRIM_400000_NS6detail17trampoline_kernelINS0_14default_configENS1_21merge_config_selectorIiNS0_10empty_typeEEEZNS1_10merge_implIS3_N6thrust23THRUST_200600_302600_NS6detail15normal_iteratorINS9_10device_ptrIKiEEEESF_NSB_INSC_IiEEEEPS5_SI_SI_NS9_4lessIiEEEE10hipError_tPvRmT0_T1_T2_T3_T4_T5_mmT6_P12ihipStream_tbEUlT_E0_NS1_11comp_targetILNS1_3genE10ELNS1_11target_archE1201ELNS1_3gpuE5ELNS1_3repE0EEENS1_30default_config_static_selectorELNS0_4arch9wavefront6targetE1EEEvSP_, .Lfunc_end15-_ZN7rocprim17ROCPRIM_400000_NS6detail17trampoline_kernelINS0_14default_configENS1_21merge_config_selectorIiNS0_10empty_typeEEEZNS1_10merge_implIS3_N6thrust23THRUST_200600_302600_NS6detail15normal_iteratorINS9_10device_ptrIKiEEEESF_NSB_INSC_IiEEEEPS5_SI_SI_NS9_4lessIiEEEE10hipError_tPvRmT0_T1_T2_T3_T4_T5_mmT6_P12ihipStream_tbEUlT_E0_NS1_11comp_targetILNS1_3genE10ELNS1_11target_archE1201ELNS1_3gpuE5ELNS1_3repE0EEENS1_30default_config_static_selectorELNS0_4arch9wavefront6targetE1EEEvSP_
                                        ; -- End function
	.set _ZN7rocprim17ROCPRIM_400000_NS6detail17trampoline_kernelINS0_14default_configENS1_21merge_config_selectorIiNS0_10empty_typeEEEZNS1_10merge_implIS3_N6thrust23THRUST_200600_302600_NS6detail15normal_iteratorINS9_10device_ptrIKiEEEESF_NSB_INSC_IiEEEEPS5_SI_SI_NS9_4lessIiEEEE10hipError_tPvRmT0_T1_T2_T3_T4_T5_mmT6_P12ihipStream_tbEUlT_E0_NS1_11comp_targetILNS1_3genE10ELNS1_11target_archE1201ELNS1_3gpuE5ELNS1_3repE0EEENS1_30default_config_static_selectorELNS0_4arch9wavefront6targetE1EEEvSP_.num_vgpr, 0
	.set _ZN7rocprim17ROCPRIM_400000_NS6detail17trampoline_kernelINS0_14default_configENS1_21merge_config_selectorIiNS0_10empty_typeEEEZNS1_10merge_implIS3_N6thrust23THRUST_200600_302600_NS6detail15normal_iteratorINS9_10device_ptrIKiEEEESF_NSB_INSC_IiEEEEPS5_SI_SI_NS9_4lessIiEEEE10hipError_tPvRmT0_T1_T2_T3_T4_T5_mmT6_P12ihipStream_tbEUlT_E0_NS1_11comp_targetILNS1_3genE10ELNS1_11target_archE1201ELNS1_3gpuE5ELNS1_3repE0EEENS1_30default_config_static_selectorELNS0_4arch9wavefront6targetE1EEEvSP_.num_agpr, 0
	.set _ZN7rocprim17ROCPRIM_400000_NS6detail17trampoline_kernelINS0_14default_configENS1_21merge_config_selectorIiNS0_10empty_typeEEEZNS1_10merge_implIS3_N6thrust23THRUST_200600_302600_NS6detail15normal_iteratorINS9_10device_ptrIKiEEEESF_NSB_INSC_IiEEEEPS5_SI_SI_NS9_4lessIiEEEE10hipError_tPvRmT0_T1_T2_T3_T4_T5_mmT6_P12ihipStream_tbEUlT_E0_NS1_11comp_targetILNS1_3genE10ELNS1_11target_archE1201ELNS1_3gpuE5ELNS1_3repE0EEENS1_30default_config_static_selectorELNS0_4arch9wavefront6targetE1EEEvSP_.numbered_sgpr, 0
	.set _ZN7rocprim17ROCPRIM_400000_NS6detail17trampoline_kernelINS0_14default_configENS1_21merge_config_selectorIiNS0_10empty_typeEEEZNS1_10merge_implIS3_N6thrust23THRUST_200600_302600_NS6detail15normal_iteratorINS9_10device_ptrIKiEEEESF_NSB_INSC_IiEEEEPS5_SI_SI_NS9_4lessIiEEEE10hipError_tPvRmT0_T1_T2_T3_T4_T5_mmT6_P12ihipStream_tbEUlT_E0_NS1_11comp_targetILNS1_3genE10ELNS1_11target_archE1201ELNS1_3gpuE5ELNS1_3repE0EEENS1_30default_config_static_selectorELNS0_4arch9wavefront6targetE1EEEvSP_.num_named_barrier, 0
	.set _ZN7rocprim17ROCPRIM_400000_NS6detail17trampoline_kernelINS0_14default_configENS1_21merge_config_selectorIiNS0_10empty_typeEEEZNS1_10merge_implIS3_N6thrust23THRUST_200600_302600_NS6detail15normal_iteratorINS9_10device_ptrIKiEEEESF_NSB_INSC_IiEEEEPS5_SI_SI_NS9_4lessIiEEEE10hipError_tPvRmT0_T1_T2_T3_T4_T5_mmT6_P12ihipStream_tbEUlT_E0_NS1_11comp_targetILNS1_3genE10ELNS1_11target_archE1201ELNS1_3gpuE5ELNS1_3repE0EEENS1_30default_config_static_selectorELNS0_4arch9wavefront6targetE1EEEvSP_.private_seg_size, 0
	.set _ZN7rocprim17ROCPRIM_400000_NS6detail17trampoline_kernelINS0_14default_configENS1_21merge_config_selectorIiNS0_10empty_typeEEEZNS1_10merge_implIS3_N6thrust23THRUST_200600_302600_NS6detail15normal_iteratorINS9_10device_ptrIKiEEEESF_NSB_INSC_IiEEEEPS5_SI_SI_NS9_4lessIiEEEE10hipError_tPvRmT0_T1_T2_T3_T4_T5_mmT6_P12ihipStream_tbEUlT_E0_NS1_11comp_targetILNS1_3genE10ELNS1_11target_archE1201ELNS1_3gpuE5ELNS1_3repE0EEENS1_30default_config_static_selectorELNS0_4arch9wavefront6targetE1EEEvSP_.uses_vcc, 0
	.set _ZN7rocprim17ROCPRIM_400000_NS6detail17trampoline_kernelINS0_14default_configENS1_21merge_config_selectorIiNS0_10empty_typeEEEZNS1_10merge_implIS3_N6thrust23THRUST_200600_302600_NS6detail15normal_iteratorINS9_10device_ptrIKiEEEESF_NSB_INSC_IiEEEEPS5_SI_SI_NS9_4lessIiEEEE10hipError_tPvRmT0_T1_T2_T3_T4_T5_mmT6_P12ihipStream_tbEUlT_E0_NS1_11comp_targetILNS1_3genE10ELNS1_11target_archE1201ELNS1_3gpuE5ELNS1_3repE0EEENS1_30default_config_static_selectorELNS0_4arch9wavefront6targetE1EEEvSP_.uses_flat_scratch, 0
	.set _ZN7rocprim17ROCPRIM_400000_NS6detail17trampoline_kernelINS0_14default_configENS1_21merge_config_selectorIiNS0_10empty_typeEEEZNS1_10merge_implIS3_N6thrust23THRUST_200600_302600_NS6detail15normal_iteratorINS9_10device_ptrIKiEEEESF_NSB_INSC_IiEEEEPS5_SI_SI_NS9_4lessIiEEEE10hipError_tPvRmT0_T1_T2_T3_T4_T5_mmT6_P12ihipStream_tbEUlT_E0_NS1_11comp_targetILNS1_3genE10ELNS1_11target_archE1201ELNS1_3gpuE5ELNS1_3repE0EEENS1_30default_config_static_selectorELNS0_4arch9wavefront6targetE1EEEvSP_.has_dyn_sized_stack, 0
	.set _ZN7rocprim17ROCPRIM_400000_NS6detail17trampoline_kernelINS0_14default_configENS1_21merge_config_selectorIiNS0_10empty_typeEEEZNS1_10merge_implIS3_N6thrust23THRUST_200600_302600_NS6detail15normal_iteratorINS9_10device_ptrIKiEEEESF_NSB_INSC_IiEEEEPS5_SI_SI_NS9_4lessIiEEEE10hipError_tPvRmT0_T1_T2_T3_T4_T5_mmT6_P12ihipStream_tbEUlT_E0_NS1_11comp_targetILNS1_3genE10ELNS1_11target_archE1201ELNS1_3gpuE5ELNS1_3repE0EEENS1_30default_config_static_selectorELNS0_4arch9wavefront6targetE1EEEvSP_.has_recursion, 0
	.set _ZN7rocprim17ROCPRIM_400000_NS6detail17trampoline_kernelINS0_14default_configENS1_21merge_config_selectorIiNS0_10empty_typeEEEZNS1_10merge_implIS3_N6thrust23THRUST_200600_302600_NS6detail15normal_iteratorINS9_10device_ptrIKiEEEESF_NSB_INSC_IiEEEEPS5_SI_SI_NS9_4lessIiEEEE10hipError_tPvRmT0_T1_T2_T3_T4_T5_mmT6_P12ihipStream_tbEUlT_E0_NS1_11comp_targetILNS1_3genE10ELNS1_11target_archE1201ELNS1_3gpuE5ELNS1_3repE0EEENS1_30default_config_static_selectorELNS0_4arch9wavefront6targetE1EEEvSP_.has_indirect_call, 0
	.section	.AMDGPU.csdata,"",@progbits
; Kernel info:
; codeLenInByte = 0
; TotalNumSgprs: 4
; NumVgprs: 0
; ScratchSize: 0
; MemoryBound: 0
; FloatMode: 240
; IeeeMode: 1
; LDSByteSize: 0 bytes/workgroup (compile time only)
; SGPRBlocks: 0
; VGPRBlocks: 0
; NumSGPRsForWavesPerEU: 4
; NumVGPRsForWavesPerEU: 1
; Occupancy: 10
; WaveLimiterHint : 0
; COMPUTE_PGM_RSRC2:SCRATCH_EN: 0
; COMPUTE_PGM_RSRC2:USER_SGPR: 6
; COMPUTE_PGM_RSRC2:TRAP_HANDLER: 0
; COMPUTE_PGM_RSRC2:TGID_X_EN: 1
; COMPUTE_PGM_RSRC2:TGID_Y_EN: 0
; COMPUTE_PGM_RSRC2:TGID_Z_EN: 0
; COMPUTE_PGM_RSRC2:TIDIG_COMP_CNT: 0
	.section	.text._ZN7rocprim17ROCPRIM_400000_NS6detail17trampoline_kernelINS0_14default_configENS1_21merge_config_selectorIiNS0_10empty_typeEEEZNS1_10merge_implIS3_N6thrust23THRUST_200600_302600_NS6detail15normal_iteratorINS9_10device_ptrIKiEEEESF_NSB_INSC_IiEEEEPS5_SI_SI_NS9_4lessIiEEEE10hipError_tPvRmT0_T1_T2_T3_T4_T5_mmT6_P12ihipStream_tbEUlT_E0_NS1_11comp_targetILNS1_3genE10ELNS1_11target_archE1200ELNS1_3gpuE4ELNS1_3repE0EEENS1_30default_config_static_selectorELNS0_4arch9wavefront6targetE1EEEvSP_,"axG",@progbits,_ZN7rocprim17ROCPRIM_400000_NS6detail17trampoline_kernelINS0_14default_configENS1_21merge_config_selectorIiNS0_10empty_typeEEEZNS1_10merge_implIS3_N6thrust23THRUST_200600_302600_NS6detail15normal_iteratorINS9_10device_ptrIKiEEEESF_NSB_INSC_IiEEEEPS5_SI_SI_NS9_4lessIiEEEE10hipError_tPvRmT0_T1_T2_T3_T4_T5_mmT6_P12ihipStream_tbEUlT_E0_NS1_11comp_targetILNS1_3genE10ELNS1_11target_archE1200ELNS1_3gpuE4ELNS1_3repE0EEENS1_30default_config_static_selectorELNS0_4arch9wavefront6targetE1EEEvSP_,comdat
	.protected	_ZN7rocprim17ROCPRIM_400000_NS6detail17trampoline_kernelINS0_14default_configENS1_21merge_config_selectorIiNS0_10empty_typeEEEZNS1_10merge_implIS3_N6thrust23THRUST_200600_302600_NS6detail15normal_iteratorINS9_10device_ptrIKiEEEESF_NSB_INSC_IiEEEEPS5_SI_SI_NS9_4lessIiEEEE10hipError_tPvRmT0_T1_T2_T3_T4_T5_mmT6_P12ihipStream_tbEUlT_E0_NS1_11comp_targetILNS1_3genE10ELNS1_11target_archE1200ELNS1_3gpuE4ELNS1_3repE0EEENS1_30default_config_static_selectorELNS0_4arch9wavefront6targetE1EEEvSP_ ; -- Begin function _ZN7rocprim17ROCPRIM_400000_NS6detail17trampoline_kernelINS0_14default_configENS1_21merge_config_selectorIiNS0_10empty_typeEEEZNS1_10merge_implIS3_N6thrust23THRUST_200600_302600_NS6detail15normal_iteratorINS9_10device_ptrIKiEEEESF_NSB_INSC_IiEEEEPS5_SI_SI_NS9_4lessIiEEEE10hipError_tPvRmT0_T1_T2_T3_T4_T5_mmT6_P12ihipStream_tbEUlT_E0_NS1_11comp_targetILNS1_3genE10ELNS1_11target_archE1200ELNS1_3gpuE4ELNS1_3repE0EEENS1_30default_config_static_selectorELNS0_4arch9wavefront6targetE1EEEvSP_
	.globl	_ZN7rocprim17ROCPRIM_400000_NS6detail17trampoline_kernelINS0_14default_configENS1_21merge_config_selectorIiNS0_10empty_typeEEEZNS1_10merge_implIS3_N6thrust23THRUST_200600_302600_NS6detail15normal_iteratorINS9_10device_ptrIKiEEEESF_NSB_INSC_IiEEEEPS5_SI_SI_NS9_4lessIiEEEE10hipError_tPvRmT0_T1_T2_T3_T4_T5_mmT6_P12ihipStream_tbEUlT_E0_NS1_11comp_targetILNS1_3genE10ELNS1_11target_archE1200ELNS1_3gpuE4ELNS1_3repE0EEENS1_30default_config_static_selectorELNS0_4arch9wavefront6targetE1EEEvSP_
	.p2align	8
	.type	_ZN7rocprim17ROCPRIM_400000_NS6detail17trampoline_kernelINS0_14default_configENS1_21merge_config_selectorIiNS0_10empty_typeEEEZNS1_10merge_implIS3_N6thrust23THRUST_200600_302600_NS6detail15normal_iteratorINS9_10device_ptrIKiEEEESF_NSB_INSC_IiEEEEPS5_SI_SI_NS9_4lessIiEEEE10hipError_tPvRmT0_T1_T2_T3_T4_T5_mmT6_P12ihipStream_tbEUlT_E0_NS1_11comp_targetILNS1_3genE10ELNS1_11target_archE1200ELNS1_3gpuE4ELNS1_3repE0EEENS1_30default_config_static_selectorELNS0_4arch9wavefront6targetE1EEEvSP_,@function
_ZN7rocprim17ROCPRIM_400000_NS6detail17trampoline_kernelINS0_14default_configENS1_21merge_config_selectorIiNS0_10empty_typeEEEZNS1_10merge_implIS3_N6thrust23THRUST_200600_302600_NS6detail15normal_iteratorINS9_10device_ptrIKiEEEESF_NSB_INSC_IiEEEEPS5_SI_SI_NS9_4lessIiEEEE10hipError_tPvRmT0_T1_T2_T3_T4_T5_mmT6_P12ihipStream_tbEUlT_E0_NS1_11comp_targetILNS1_3genE10ELNS1_11target_archE1200ELNS1_3gpuE4ELNS1_3repE0EEENS1_30default_config_static_selectorELNS0_4arch9wavefront6targetE1EEEvSP_: ; @_ZN7rocprim17ROCPRIM_400000_NS6detail17trampoline_kernelINS0_14default_configENS1_21merge_config_selectorIiNS0_10empty_typeEEEZNS1_10merge_implIS3_N6thrust23THRUST_200600_302600_NS6detail15normal_iteratorINS9_10device_ptrIKiEEEESF_NSB_INSC_IiEEEEPS5_SI_SI_NS9_4lessIiEEEE10hipError_tPvRmT0_T1_T2_T3_T4_T5_mmT6_P12ihipStream_tbEUlT_E0_NS1_11comp_targetILNS1_3genE10ELNS1_11target_archE1200ELNS1_3gpuE4ELNS1_3repE0EEENS1_30default_config_static_selectorELNS0_4arch9wavefront6targetE1EEEvSP_
; %bb.0:
	.section	.rodata,"a",@progbits
	.p2align	6, 0x0
	.amdhsa_kernel _ZN7rocprim17ROCPRIM_400000_NS6detail17trampoline_kernelINS0_14default_configENS1_21merge_config_selectorIiNS0_10empty_typeEEEZNS1_10merge_implIS3_N6thrust23THRUST_200600_302600_NS6detail15normal_iteratorINS9_10device_ptrIKiEEEESF_NSB_INSC_IiEEEEPS5_SI_SI_NS9_4lessIiEEEE10hipError_tPvRmT0_T1_T2_T3_T4_T5_mmT6_P12ihipStream_tbEUlT_E0_NS1_11comp_targetILNS1_3genE10ELNS1_11target_archE1200ELNS1_3gpuE4ELNS1_3repE0EEENS1_30default_config_static_selectorELNS0_4arch9wavefront6targetE1EEEvSP_
		.amdhsa_group_segment_fixed_size 0
		.amdhsa_private_segment_fixed_size 0
		.amdhsa_kernarg_size 88
		.amdhsa_user_sgpr_count 6
		.amdhsa_user_sgpr_private_segment_buffer 1
		.amdhsa_user_sgpr_dispatch_ptr 0
		.amdhsa_user_sgpr_queue_ptr 0
		.amdhsa_user_sgpr_kernarg_segment_ptr 1
		.amdhsa_user_sgpr_dispatch_id 0
		.amdhsa_user_sgpr_flat_scratch_init 0
		.amdhsa_user_sgpr_private_segment_size 0
		.amdhsa_uses_dynamic_stack 0
		.amdhsa_system_sgpr_private_segment_wavefront_offset 0
		.amdhsa_system_sgpr_workgroup_id_x 1
		.amdhsa_system_sgpr_workgroup_id_y 0
		.amdhsa_system_sgpr_workgroup_id_z 0
		.amdhsa_system_sgpr_workgroup_info 0
		.amdhsa_system_vgpr_workitem_id 0
		.amdhsa_next_free_vgpr 1
		.amdhsa_next_free_sgpr 0
		.amdhsa_reserve_vcc 0
		.amdhsa_reserve_flat_scratch 0
		.amdhsa_float_round_mode_32 0
		.amdhsa_float_round_mode_16_64 0
		.amdhsa_float_denorm_mode_32 3
		.amdhsa_float_denorm_mode_16_64 3
		.amdhsa_dx10_clamp 1
		.amdhsa_ieee_mode 1
		.amdhsa_fp16_overflow 0
		.amdhsa_exception_fp_ieee_invalid_op 0
		.amdhsa_exception_fp_denorm_src 0
		.amdhsa_exception_fp_ieee_div_zero 0
		.amdhsa_exception_fp_ieee_overflow 0
		.amdhsa_exception_fp_ieee_underflow 0
		.amdhsa_exception_fp_ieee_inexact 0
		.amdhsa_exception_int_div_zero 0
	.end_amdhsa_kernel
	.section	.text._ZN7rocprim17ROCPRIM_400000_NS6detail17trampoline_kernelINS0_14default_configENS1_21merge_config_selectorIiNS0_10empty_typeEEEZNS1_10merge_implIS3_N6thrust23THRUST_200600_302600_NS6detail15normal_iteratorINS9_10device_ptrIKiEEEESF_NSB_INSC_IiEEEEPS5_SI_SI_NS9_4lessIiEEEE10hipError_tPvRmT0_T1_T2_T3_T4_T5_mmT6_P12ihipStream_tbEUlT_E0_NS1_11comp_targetILNS1_3genE10ELNS1_11target_archE1200ELNS1_3gpuE4ELNS1_3repE0EEENS1_30default_config_static_selectorELNS0_4arch9wavefront6targetE1EEEvSP_,"axG",@progbits,_ZN7rocprim17ROCPRIM_400000_NS6detail17trampoline_kernelINS0_14default_configENS1_21merge_config_selectorIiNS0_10empty_typeEEEZNS1_10merge_implIS3_N6thrust23THRUST_200600_302600_NS6detail15normal_iteratorINS9_10device_ptrIKiEEEESF_NSB_INSC_IiEEEEPS5_SI_SI_NS9_4lessIiEEEE10hipError_tPvRmT0_T1_T2_T3_T4_T5_mmT6_P12ihipStream_tbEUlT_E0_NS1_11comp_targetILNS1_3genE10ELNS1_11target_archE1200ELNS1_3gpuE4ELNS1_3repE0EEENS1_30default_config_static_selectorELNS0_4arch9wavefront6targetE1EEEvSP_,comdat
.Lfunc_end16:
	.size	_ZN7rocprim17ROCPRIM_400000_NS6detail17trampoline_kernelINS0_14default_configENS1_21merge_config_selectorIiNS0_10empty_typeEEEZNS1_10merge_implIS3_N6thrust23THRUST_200600_302600_NS6detail15normal_iteratorINS9_10device_ptrIKiEEEESF_NSB_INSC_IiEEEEPS5_SI_SI_NS9_4lessIiEEEE10hipError_tPvRmT0_T1_T2_T3_T4_T5_mmT6_P12ihipStream_tbEUlT_E0_NS1_11comp_targetILNS1_3genE10ELNS1_11target_archE1200ELNS1_3gpuE4ELNS1_3repE0EEENS1_30default_config_static_selectorELNS0_4arch9wavefront6targetE1EEEvSP_, .Lfunc_end16-_ZN7rocprim17ROCPRIM_400000_NS6detail17trampoline_kernelINS0_14default_configENS1_21merge_config_selectorIiNS0_10empty_typeEEEZNS1_10merge_implIS3_N6thrust23THRUST_200600_302600_NS6detail15normal_iteratorINS9_10device_ptrIKiEEEESF_NSB_INSC_IiEEEEPS5_SI_SI_NS9_4lessIiEEEE10hipError_tPvRmT0_T1_T2_T3_T4_T5_mmT6_P12ihipStream_tbEUlT_E0_NS1_11comp_targetILNS1_3genE10ELNS1_11target_archE1200ELNS1_3gpuE4ELNS1_3repE0EEENS1_30default_config_static_selectorELNS0_4arch9wavefront6targetE1EEEvSP_
                                        ; -- End function
	.set _ZN7rocprim17ROCPRIM_400000_NS6detail17trampoline_kernelINS0_14default_configENS1_21merge_config_selectorIiNS0_10empty_typeEEEZNS1_10merge_implIS3_N6thrust23THRUST_200600_302600_NS6detail15normal_iteratorINS9_10device_ptrIKiEEEESF_NSB_INSC_IiEEEEPS5_SI_SI_NS9_4lessIiEEEE10hipError_tPvRmT0_T1_T2_T3_T4_T5_mmT6_P12ihipStream_tbEUlT_E0_NS1_11comp_targetILNS1_3genE10ELNS1_11target_archE1200ELNS1_3gpuE4ELNS1_3repE0EEENS1_30default_config_static_selectorELNS0_4arch9wavefront6targetE1EEEvSP_.num_vgpr, 0
	.set _ZN7rocprim17ROCPRIM_400000_NS6detail17trampoline_kernelINS0_14default_configENS1_21merge_config_selectorIiNS0_10empty_typeEEEZNS1_10merge_implIS3_N6thrust23THRUST_200600_302600_NS6detail15normal_iteratorINS9_10device_ptrIKiEEEESF_NSB_INSC_IiEEEEPS5_SI_SI_NS9_4lessIiEEEE10hipError_tPvRmT0_T1_T2_T3_T4_T5_mmT6_P12ihipStream_tbEUlT_E0_NS1_11comp_targetILNS1_3genE10ELNS1_11target_archE1200ELNS1_3gpuE4ELNS1_3repE0EEENS1_30default_config_static_selectorELNS0_4arch9wavefront6targetE1EEEvSP_.num_agpr, 0
	.set _ZN7rocprim17ROCPRIM_400000_NS6detail17trampoline_kernelINS0_14default_configENS1_21merge_config_selectorIiNS0_10empty_typeEEEZNS1_10merge_implIS3_N6thrust23THRUST_200600_302600_NS6detail15normal_iteratorINS9_10device_ptrIKiEEEESF_NSB_INSC_IiEEEEPS5_SI_SI_NS9_4lessIiEEEE10hipError_tPvRmT0_T1_T2_T3_T4_T5_mmT6_P12ihipStream_tbEUlT_E0_NS1_11comp_targetILNS1_3genE10ELNS1_11target_archE1200ELNS1_3gpuE4ELNS1_3repE0EEENS1_30default_config_static_selectorELNS0_4arch9wavefront6targetE1EEEvSP_.numbered_sgpr, 0
	.set _ZN7rocprim17ROCPRIM_400000_NS6detail17trampoline_kernelINS0_14default_configENS1_21merge_config_selectorIiNS0_10empty_typeEEEZNS1_10merge_implIS3_N6thrust23THRUST_200600_302600_NS6detail15normal_iteratorINS9_10device_ptrIKiEEEESF_NSB_INSC_IiEEEEPS5_SI_SI_NS9_4lessIiEEEE10hipError_tPvRmT0_T1_T2_T3_T4_T5_mmT6_P12ihipStream_tbEUlT_E0_NS1_11comp_targetILNS1_3genE10ELNS1_11target_archE1200ELNS1_3gpuE4ELNS1_3repE0EEENS1_30default_config_static_selectorELNS0_4arch9wavefront6targetE1EEEvSP_.num_named_barrier, 0
	.set _ZN7rocprim17ROCPRIM_400000_NS6detail17trampoline_kernelINS0_14default_configENS1_21merge_config_selectorIiNS0_10empty_typeEEEZNS1_10merge_implIS3_N6thrust23THRUST_200600_302600_NS6detail15normal_iteratorINS9_10device_ptrIKiEEEESF_NSB_INSC_IiEEEEPS5_SI_SI_NS9_4lessIiEEEE10hipError_tPvRmT0_T1_T2_T3_T4_T5_mmT6_P12ihipStream_tbEUlT_E0_NS1_11comp_targetILNS1_3genE10ELNS1_11target_archE1200ELNS1_3gpuE4ELNS1_3repE0EEENS1_30default_config_static_selectorELNS0_4arch9wavefront6targetE1EEEvSP_.private_seg_size, 0
	.set _ZN7rocprim17ROCPRIM_400000_NS6detail17trampoline_kernelINS0_14default_configENS1_21merge_config_selectorIiNS0_10empty_typeEEEZNS1_10merge_implIS3_N6thrust23THRUST_200600_302600_NS6detail15normal_iteratorINS9_10device_ptrIKiEEEESF_NSB_INSC_IiEEEEPS5_SI_SI_NS9_4lessIiEEEE10hipError_tPvRmT0_T1_T2_T3_T4_T5_mmT6_P12ihipStream_tbEUlT_E0_NS1_11comp_targetILNS1_3genE10ELNS1_11target_archE1200ELNS1_3gpuE4ELNS1_3repE0EEENS1_30default_config_static_selectorELNS0_4arch9wavefront6targetE1EEEvSP_.uses_vcc, 0
	.set _ZN7rocprim17ROCPRIM_400000_NS6detail17trampoline_kernelINS0_14default_configENS1_21merge_config_selectorIiNS0_10empty_typeEEEZNS1_10merge_implIS3_N6thrust23THRUST_200600_302600_NS6detail15normal_iteratorINS9_10device_ptrIKiEEEESF_NSB_INSC_IiEEEEPS5_SI_SI_NS9_4lessIiEEEE10hipError_tPvRmT0_T1_T2_T3_T4_T5_mmT6_P12ihipStream_tbEUlT_E0_NS1_11comp_targetILNS1_3genE10ELNS1_11target_archE1200ELNS1_3gpuE4ELNS1_3repE0EEENS1_30default_config_static_selectorELNS0_4arch9wavefront6targetE1EEEvSP_.uses_flat_scratch, 0
	.set _ZN7rocprim17ROCPRIM_400000_NS6detail17trampoline_kernelINS0_14default_configENS1_21merge_config_selectorIiNS0_10empty_typeEEEZNS1_10merge_implIS3_N6thrust23THRUST_200600_302600_NS6detail15normal_iteratorINS9_10device_ptrIKiEEEESF_NSB_INSC_IiEEEEPS5_SI_SI_NS9_4lessIiEEEE10hipError_tPvRmT0_T1_T2_T3_T4_T5_mmT6_P12ihipStream_tbEUlT_E0_NS1_11comp_targetILNS1_3genE10ELNS1_11target_archE1200ELNS1_3gpuE4ELNS1_3repE0EEENS1_30default_config_static_selectorELNS0_4arch9wavefront6targetE1EEEvSP_.has_dyn_sized_stack, 0
	.set _ZN7rocprim17ROCPRIM_400000_NS6detail17trampoline_kernelINS0_14default_configENS1_21merge_config_selectorIiNS0_10empty_typeEEEZNS1_10merge_implIS3_N6thrust23THRUST_200600_302600_NS6detail15normal_iteratorINS9_10device_ptrIKiEEEESF_NSB_INSC_IiEEEEPS5_SI_SI_NS9_4lessIiEEEE10hipError_tPvRmT0_T1_T2_T3_T4_T5_mmT6_P12ihipStream_tbEUlT_E0_NS1_11comp_targetILNS1_3genE10ELNS1_11target_archE1200ELNS1_3gpuE4ELNS1_3repE0EEENS1_30default_config_static_selectorELNS0_4arch9wavefront6targetE1EEEvSP_.has_recursion, 0
	.set _ZN7rocprim17ROCPRIM_400000_NS6detail17trampoline_kernelINS0_14default_configENS1_21merge_config_selectorIiNS0_10empty_typeEEEZNS1_10merge_implIS3_N6thrust23THRUST_200600_302600_NS6detail15normal_iteratorINS9_10device_ptrIKiEEEESF_NSB_INSC_IiEEEEPS5_SI_SI_NS9_4lessIiEEEE10hipError_tPvRmT0_T1_T2_T3_T4_T5_mmT6_P12ihipStream_tbEUlT_E0_NS1_11comp_targetILNS1_3genE10ELNS1_11target_archE1200ELNS1_3gpuE4ELNS1_3repE0EEENS1_30default_config_static_selectorELNS0_4arch9wavefront6targetE1EEEvSP_.has_indirect_call, 0
	.section	.AMDGPU.csdata,"",@progbits
; Kernel info:
; codeLenInByte = 0
; TotalNumSgprs: 4
; NumVgprs: 0
; ScratchSize: 0
; MemoryBound: 0
; FloatMode: 240
; IeeeMode: 1
; LDSByteSize: 0 bytes/workgroup (compile time only)
; SGPRBlocks: 0
; VGPRBlocks: 0
; NumSGPRsForWavesPerEU: 4
; NumVGPRsForWavesPerEU: 1
; Occupancy: 10
; WaveLimiterHint : 0
; COMPUTE_PGM_RSRC2:SCRATCH_EN: 0
; COMPUTE_PGM_RSRC2:USER_SGPR: 6
; COMPUTE_PGM_RSRC2:TRAP_HANDLER: 0
; COMPUTE_PGM_RSRC2:TGID_X_EN: 1
; COMPUTE_PGM_RSRC2:TGID_Y_EN: 0
; COMPUTE_PGM_RSRC2:TGID_Z_EN: 0
; COMPUTE_PGM_RSRC2:TIDIG_COMP_CNT: 0
	.section	.text._ZN7rocprim17ROCPRIM_400000_NS6detail17trampoline_kernelINS0_14default_configENS1_21merge_config_selectorIiNS0_10empty_typeEEEZNS1_10merge_implIS3_N6thrust23THRUST_200600_302600_NS6detail15normal_iteratorINS9_10device_ptrIKiEEEESF_NSB_INSC_IiEEEEPS5_SI_SI_NS9_4lessIiEEEE10hipError_tPvRmT0_T1_T2_T3_T4_T5_mmT6_P12ihipStream_tbEUlT_E0_NS1_11comp_targetILNS1_3genE9ELNS1_11target_archE1100ELNS1_3gpuE3ELNS1_3repE0EEENS1_30default_config_static_selectorELNS0_4arch9wavefront6targetE1EEEvSP_,"axG",@progbits,_ZN7rocprim17ROCPRIM_400000_NS6detail17trampoline_kernelINS0_14default_configENS1_21merge_config_selectorIiNS0_10empty_typeEEEZNS1_10merge_implIS3_N6thrust23THRUST_200600_302600_NS6detail15normal_iteratorINS9_10device_ptrIKiEEEESF_NSB_INSC_IiEEEEPS5_SI_SI_NS9_4lessIiEEEE10hipError_tPvRmT0_T1_T2_T3_T4_T5_mmT6_P12ihipStream_tbEUlT_E0_NS1_11comp_targetILNS1_3genE9ELNS1_11target_archE1100ELNS1_3gpuE3ELNS1_3repE0EEENS1_30default_config_static_selectorELNS0_4arch9wavefront6targetE1EEEvSP_,comdat
	.protected	_ZN7rocprim17ROCPRIM_400000_NS6detail17trampoline_kernelINS0_14default_configENS1_21merge_config_selectorIiNS0_10empty_typeEEEZNS1_10merge_implIS3_N6thrust23THRUST_200600_302600_NS6detail15normal_iteratorINS9_10device_ptrIKiEEEESF_NSB_INSC_IiEEEEPS5_SI_SI_NS9_4lessIiEEEE10hipError_tPvRmT0_T1_T2_T3_T4_T5_mmT6_P12ihipStream_tbEUlT_E0_NS1_11comp_targetILNS1_3genE9ELNS1_11target_archE1100ELNS1_3gpuE3ELNS1_3repE0EEENS1_30default_config_static_selectorELNS0_4arch9wavefront6targetE1EEEvSP_ ; -- Begin function _ZN7rocprim17ROCPRIM_400000_NS6detail17trampoline_kernelINS0_14default_configENS1_21merge_config_selectorIiNS0_10empty_typeEEEZNS1_10merge_implIS3_N6thrust23THRUST_200600_302600_NS6detail15normal_iteratorINS9_10device_ptrIKiEEEESF_NSB_INSC_IiEEEEPS5_SI_SI_NS9_4lessIiEEEE10hipError_tPvRmT0_T1_T2_T3_T4_T5_mmT6_P12ihipStream_tbEUlT_E0_NS1_11comp_targetILNS1_3genE9ELNS1_11target_archE1100ELNS1_3gpuE3ELNS1_3repE0EEENS1_30default_config_static_selectorELNS0_4arch9wavefront6targetE1EEEvSP_
	.globl	_ZN7rocprim17ROCPRIM_400000_NS6detail17trampoline_kernelINS0_14default_configENS1_21merge_config_selectorIiNS0_10empty_typeEEEZNS1_10merge_implIS3_N6thrust23THRUST_200600_302600_NS6detail15normal_iteratorINS9_10device_ptrIKiEEEESF_NSB_INSC_IiEEEEPS5_SI_SI_NS9_4lessIiEEEE10hipError_tPvRmT0_T1_T2_T3_T4_T5_mmT6_P12ihipStream_tbEUlT_E0_NS1_11comp_targetILNS1_3genE9ELNS1_11target_archE1100ELNS1_3gpuE3ELNS1_3repE0EEENS1_30default_config_static_selectorELNS0_4arch9wavefront6targetE1EEEvSP_
	.p2align	8
	.type	_ZN7rocprim17ROCPRIM_400000_NS6detail17trampoline_kernelINS0_14default_configENS1_21merge_config_selectorIiNS0_10empty_typeEEEZNS1_10merge_implIS3_N6thrust23THRUST_200600_302600_NS6detail15normal_iteratorINS9_10device_ptrIKiEEEESF_NSB_INSC_IiEEEEPS5_SI_SI_NS9_4lessIiEEEE10hipError_tPvRmT0_T1_T2_T3_T4_T5_mmT6_P12ihipStream_tbEUlT_E0_NS1_11comp_targetILNS1_3genE9ELNS1_11target_archE1100ELNS1_3gpuE3ELNS1_3repE0EEENS1_30default_config_static_selectorELNS0_4arch9wavefront6targetE1EEEvSP_,@function
_ZN7rocprim17ROCPRIM_400000_NS6detail17trampoline_kernelINS0_14default_configENS1_21merge_config_selectorIiNS0_10empty_typeEEEZNS1_10merge_implIS3_N6thrust23THRUST_200600_302600_NS6detail15normal_iteratorINS9_10device_ptrIKiEEEESF_NSB_INSC_IiEEEEPS5_SI_SI_NS9_4lessIiEEEE10hipError_tPvRmT0_T1_T2_T3_T4_T5_mmT6_P12ihipStream_tbEUlT_E0_NS1_11comp_targetILNS1_3genE9ELNS1_11target_archE1100ELNS1_3gpuE3ELNS1_3repE0EEENS1_30default_config_static_selectorELNS0_4arch9wavefront6targetE1EEEvSP_: ; @_ZN7rocprim17ROCPRIM_400000_NS6detail17trampoline_kernelINS0_14default_configENS1_21merge_config_selectorIiNS0_10empty_typeEEEZNS1_10merge_implIS3_N6thrust23THRUST_200600_302600_NS6detail15normal_iteratorINS9_10device_ptrIKiEEEESF_NSB_INSC_IiEEEEPS5_SI_SI_NS9_4lessIiEEEE10hipError_tPvRmT0_T1_T2_T3_T4_T5_mmT6_P12ihipStream_tbEUlT_E0_NS1_11comp_targetILNS1_3genE9ELNS1_11target_archE1100ELNS1_3gpuE3ELNS1_3repE0EEENS1_30default_config_static_selectorELNS0_4arch9wavefront6targetE1EEEvSP_
; %bb.0:
	.section	.rodata,"a",@progbits
	.p2align	6, 0x0
	.amdhsa_kernel _ZN7rocprim17ROCPRIM_400000_NS6detail17trampoline_kernelINS0_14default_configENS1_21merge_config_selectorIiNS0_10empty_typeEEEZNS1_10merge_implIS3_N6thrust23THRUST_200600_302600_NS6detail15normal_iteratorINS9_10device_ptrIKiEEEESF_NSB_INSC_IiEEEEPS5_SI_SI_NS9_4lessIiEEEE10hipError_tPvRmT0_T1_T2_T3_T4_T5_mmT6_P12ihipStream_tbEUlT_E0_NS1_11comp_targetILNS1_3genE9ELNS1_11target_archE1100ELNS1_3gpuE3ELNS1_3repE0EEENS1_30default_config_static_selectorELNS0_4arch9wavefront6targetE1EEEvSP_
		.amdhsa_group_segment_fixed_size 0
		.amdhsa_private_segment_fixed_size 0
		.amdhsa_kernarg_size 88
		.amdhsa_user_sgpr_count 6
		.amdhsa_user_sgpr_private_segment_buffer 1
		.amdhsa_user_sgpr_dispatch_ptr 0
		.amdhsa_user_sgpr_queue_ptr 0
		.amdhsa_user_sgpr_kernarg_segment_ptr 1
		.amdhsa_user_sgpr_dispatch_id 0
		.amdhsa_user_sgpr_flat_scratch_init 0
		.amdhsa_user_sgpr_private_segment_size 0
		.amdhsa_uses_dynamic_stack 0
		.amdhsa_system_sgpr_private_segment_wavefront_offset 0
		.amdhsa_system_sgpr_workgroup_id_x 1
		.amdhsa_system_sgpr_workgroup_id_y 0
		.amdhsa_system_sgpr_workgroup_id_z 0
		.amdhsa_system_sgpr_workgroup_info 0
		.amdhsa_system_vgpr_workitem_id 0
		.amdhsa_next_free_vgpr 1
		.amdhsa_next_free_sgpr 0
		.amdhsa_reserve_vcc 0
		.amdhsa_reserve_flat_scratch 0
		.amdhsa_float_round_mode_32 0
		.amdhsa_float_round_mode_16_64 0
		.amdhsa_float_denorm_mode_32 3
		.amdhsa_float_denorm_mode_16_64 3
		.amdhsa_dx10_clamp 1
		.amdhsa_ieee_mode 1
		.amdhsa_fp16_overflow 0
		.amdhsa_exception_fp_ieee_invalid_op 0
		.amdhsa_exception_fp_denorm_src 0
		.amdhsa_exception_fp_ieee_div_zero 0
		.amdhsa_exception_fp_ieee_overflow 0
		.amdhsa_exception_fp_ieee_underflow 0
		.amdhsa_exception_fp_ieee_inexact 0
		.amdhsa_exception_int_div_zero 0
	.end_amdhsa_kernel
	.section	.text._ZN7rocprim17ROCPRIM_400000_NS6detail17trampoline_kernelINS0_14default_configENS1_21merge_config_selectorIiNS0_10empty_typeEEEZNS1_10merge_implIS3_N6thrust23THRUST_200600_302600_NS6detail15normal_iteratorINS9_10device_ptrIKiEEEESF_NSB_INSC_IiEEEEPS5_SI_SI_NS9_4lessIiEEEE10hipError_tPvRmT0_T1_T2_T3_T4_T5_mmT6_P12ihipStream_tbEUlT_E0_NS1_11comp_targetILNS1_3genE9ELNS1_11target_archE1100ELNS1_3gpuE3ELNS1_3repE0EEENS1_30default_config_static_selectorELNS0_4arch9wavefront6targetE1EEEvSP_,"axG",@progbits,_ZN7rocprim17ROCPRIM_400000_NS6detail17trampoline_kernelINS0_14default_configENS1_21merge_config_selectorIiNS0_10empty_typeEEEZNS1_10merge_implIS3_N6thrust23THRUST_200600_302600_NS6detail15normal_iteratorINS9_10device_ptrIKiEEEESF_NSB_INSC_IiEEEEPS5_SI_SI_NS9_4lessIiEEEE10hipError_tPvRmT0_T1_T2_T3_T4_T5_mmT6_P12ihipStream_tbEUlT_E0_NS1_11comp_targetILNS1_3genE9ELNS1_11target_archE1100ELNS1_3gpuE3ELNS1_3repE0EEENS1_30default_config_static_selectorELNS0_4arch9wavefront6targetE1EEEvSP_,comdat
.Lfunc_end17:
	.size	_ZN7rocprim17ROCPRIM_400000_NS6detail17trampoline_kernelINS0_14default_configENS1_21merge_config_selectorIiNS0_10empty_typeEEEZNS1_10merge_implIS3_N6thrust23THRUST_200600_302600_NS6detail15normal_iteratorINS9_10device_ptrIKiEEEESF_NSB_INSC_IiEEEEPS5_SI_SI_NS9_4lessIiEEEE10hipError_tPvRmT0_T1_T2_T3_T4_T5_mmT6_P12ihipStream_tbEUlT_E0_NS1_11comp_targetILNS1_3genE9ELNS1_11target_archE1100ELNS1_3gpuE3ELNS1_3repE0EEENS1_30default_config_static_selectorELNS0_4arch9wavefront6targetE1EEEvSP_, .Lfunc_end17-_ZN7rocprim17ROCPRIM_400000_NS6detail17trampoline_kernelINS0_14default_configENS1_21merge_config_selectorIiNS0_10empty_typeEEEZNS1_10merge_implIS3_N6thrust23THRUST_200600_302600_NS6detail15normal_iteratorINS9_10device_ptrIKiEEEESF_NSB_INSC_IiEEEEPS5_SI_SI_NS9_4lessIiEEEE10hipError_tPvRmT0_T1_T2_T3_T4_T5_mmT6_P12ihipStream_tbEUlT_E0_NS1_11comp_targetILNS1_3genE9ELNS1_11target_archE1100ELNS1_3gpuE3ELNS1_3repE0EEENS1_30default_config_static_selectorELNS0_4arch9wavefront6targetE1EEEvSP_
                                        ; -- End function
	.set _ZN7rocprim17ROCPRIM_400000_NS6detail17trampoline_kernelINS0_14default_configENS1_21merge_config_selectorIiNS0_10empty_typeEEEZNS1_10merge_implIS3_N6thrust23THRUST_200600_302600_NS6detail15normal_iteratorINS9_10device_ptrIKiEEEESF_NSB_INSC_IiEEEEPS5_SI_SI_NS9_4lessIiEEEE10hipError_tPvRmT0_T1_T2_T3_T4_T5_mmT6_P12ihipStream_tbEUlT_E0_NS1_11comp_targetILNS1_3genE9ELNS1_11target_archE1100ELNS1_3gpuE3ELNS1_3repE0EEENS1_30default_config_static_selectorELNS0_4arch9wavefront6targetE1EEEvSP_.num_vgpr, 0
	.set _ZN7rocprim17ROCPRIM_400000_NS6detail17trampoline_kernelINS0_14default_configENS1_21merge_config_selectorIiNS0_10empty_typeEEEZNS1_10merge_implIS3_N6thrust23THRUST_200600_302600_NS6detail15normal_iteratorINS9_10device_ptrIKiEEEESF_NSB_INSC_IiEEEEPS5_SI_SI_NS9_4lessIiEEEE10hipError_tPvRmT0_T1_T2_T3_T4_T5_mmT6_P12ihipStream_tbEUlT_E0_NS1_11comp_targetILNS1_3genE9ELNS1_11target_archE1100ELNS1_3gpuE3ELNS1_3repE0EEENS1_30default_config_static_selectorELNS0_4arch9wavefront6targetE1EEEvSP_.num_agpr, 0
	.set _ZN7rocprim17ROCPRIM_400000_NS6detail17trampoline_kernelINS0_14default_configENS1_21merge_config_selectorIiNS0_10empty_typeEEEZNS1_10merge_implIS3_N6thrust23THRUST_200600_302600_NS6detail15normal_iteratorINS9_10device_ptrIKiEEEESF_NSB_INSC_IiEEEEPS5_SI_SI_NS9_4lessIiEEEE10hipError_tPvRmT0_T1_T2_T3_T4_T5_mmT6_P12ihipStream_tbEUlT_E0_NS1_11comp_targetILNS1_3genE9ELNS1_11target_archE1100ELNS1_3gpuE3ELNS1_3repE0EEENS1_30default_config_static_selectorELNS0_4arch9wavefront6targetE1EEEvSP_.numbered_sgpr, 0
	.set _ZN7rocprim17ROCPRIM_400000_NS6detail17trampoline_kernelINS0_14default_configENS1_21merge_config_selectorIiNS0_10empty_typeEEEZNS1_10merge_implIS3_N6thrust23THRUST_200600_302600_NS6detail15normal_iteratorINS9_10device_ptrIKiEEEESF_NSB_INSC_IiEEEEPS5_SI_SI_NS9_4lessIiEEEE10hipError_tPvRmT0_T1_T2_T3_T4_T5_mmT6_P12ihipStream_tbEUlT_E0_NS1_11comp_targetILNS1_3genE9ELNS1_11target_archE1100ELNS1_3gpuE3ELNS1_3repE0EEENS1_30default_config_static_selectorELNS0_4arch9wavefront6targetE1EEEvSP_.num_named_barrier, 0
	.set _ZN7rocprim17ROCPRIM_400000_NS6detail17trampoline_kernelINS0_14default_configENS1_21merge_config_selectorIiNS0_10empty_typeEEEZNS1_10merge_implIS3_N6thrust23THRUST_200600_302600_NS6detail15normal_iteratorINS9_10device_ptrIKiEEEESF_NSB_INSC_IiEEEEPS5_SI_SI_NS9_4lessIiEEEE10hipError_tPvRmT0_T1_T2_T3_T4_T5_mmT6_P12ihipStream_tbEUlT_E0_NS1_11comp_targetILNS1_3genE9ELNS1_11target_archE1100ELNS1_3gpuE3ELNS1_3repE0EEENS1_30default_config_static_selectorELNS0_4arch9wavefront6targetE1EEEvSP_.private_seg_size, 0
	.set _ZN7rocprim17ROCPRIM_400000_NS6detail17trampoline_kernelINS0_14default_configENS1_21merge_config_selectorIiNS0_10empty_typeEEEZNS1_10merge_implIS3_N6thrust23THRUST_200600_302600_NS6detail15normal_iteratorINS9_10device_ptrIKiEEEESF_NSB_INSC_IiEEEEPS5_SI_SI_NS9_4lessIiEEEE10hipError_tPvRmT0_T1_T2_T3_T4_T5_mmT6_P12ihipStream_tbEUlT_E0_NS1_11comp_targetILNS1_3genE9ELNS1_11target_archE1100ELNS1_3gpuE3ELNS1_3repE0EEENS1_30default_config_static_selectorELNS0_4arch9wavefront6targetE1EEEvSP_.uses_vcc, 0
	.set _ZN7rocprim17ROCPRIM_400000_NS6detail17trampoline_kernelINS0_14default_configENS1_21merge_config_selectorIiNS0_10empty_typeEEEZNS1_10merge_implIS3_N6thrust23THRUST_200600_302600_NS6detail15normal_iteratorINS9_10device_ptrIKiEEEESF_NSB_INSC_IiEEEEPS5_SI_SI_NS9_4lessIiEEEE10hipError_tPvRmT0_T1_T2_T3_T4_T5_mmT6_P12ihipStream_tbEUlT_E0_NS1_11comp_targetILNS1_3genE9ELNS1_11target_archE1100ELNS1_3gpuE3ELNS1_3repE0EEENS1_30default_config_static_selectorELNS0_4arch9wavefront6targetE1EEEvSP_.uses_flat_scratch, 0
	.set _ZN7rocprim17ROCPRIM_400000_NS6detail17trampoline_kernelINS0_14default_configENS1_21merge_config_selectorIiNS0_10empty_typeEEEZNS1_10merge_implIS3_N6thrust23THRUST_200600_302600_NS6detail15normal_iteratorINS9_10device_ptrIKiEEEESF_NSB_INSC_IiEEEEPS5_SI_SI_NS9_4lessIiEEEE10hipError_tPvRmT0_T1_T2_T3_T4_T5_mmT6_P12ihipStream_tbEUlT_E0_NS1_11comp_targetILNS1_3genE9ELNS1_11target_archE1100ELNS1_3gpuE3ELNS1_3repE0EEENS1_30default_config_static_selectorELNS0_4arch9wavefront6targetE1EEEvSP_.has_dyn_sized_stack, 0
	.set _ZN7rocprim17ROCPRIM_400000_NS6detail17trampoline_kernelINS0_14default_configENS1_21merge_config_selectorIiNS0_10empty_typeEEEZNS1_10merge_implIS3_N6thrust23THRUST_200600_302600_NS6detail15normal_iteratorINS9_10device_ptrIKiEEEESF_NSB_INSC_IiEEEEPS5_SI_SI_NS9_4lessIiEEEE10hipError_tPvRmT0_T1_T2_T3_T4_T5_mmT6_P12ihipStream_tbEUlT_E0_NS1_11comp_targetILNS1_3genE9ELNS1_11target_archE1100ELNS1_3gpuE3ELNS1_3repE0EEENS1_30default_config_static_selectorELNS0_4arch9wavefront6targetE1EEEvSP_.has_recursion, 0
	.set _ZN7rocprim17ROCPRIM_400000_NS6detail17trampoline_kernelINS0_14default_configENS1_21merge_config_selectorIiNS0_10empty_typeEEEZNS1_10merge_implIS3_N6thrust23THRUST_200600_302600_NS6detail15normal_iteratorINS9_10device_ptrIKiEEEESF_NSB_INSC_IiEEEEPS5_SI_SI_NS9_4lessIiEEEE10hipError_tPvRmT0_T1_T2_T3_T4_T5_mmT6_P12ihipStream_tbEUlT_E0_NS1_11comp_targetILNS1_3genE9ELNS1_11target_archE1100ELNS1_3gpuE3ELNS1_3repE0EEENS1_30default_config_static_selectorELNS0_4arch9wavefront6targetE1EEEvSP_.has_indirect_call, 0
	.section	.AMDGPU.csdata,"",@progbits
; Kernel info:
; codeLenInByte = 0
; TotalNumSgprs: 4
; NumVgprs: 0
; ScratchSize: 0
; MemoryBound: 0
; FloatMode: 240
; IeeeMode: 1
; LDSByteSize: 0 bytes/workgroup (compile time only)
; SGPRBlocks: 0
; VGPRBlocks: 0
; NumSGPRsForWavesPerEU: 4
; NumVGPRsForWavesPerEU: 1
; Occupancy: 10
; WaveLimiterHint : 0
; COMPUTE_PGM_RSRC2:SCRATCH_EN: 0
; COMPUTE_PGM_RSRC2:USER_SGPR: 6
; COMPUTE_PGM_RSRC2:TRAP_HANDLER: 0
; COMPUTE_PGM_RSRC2:TGID_X_EN: 1
; COMPUTE_PGM_RSRC2:TGID_Y_EN: 0
; COMPUTE_PGM_RSRC2:TGID_Z_EN: 0
; COMPUTE_PGM_RSRC2:TIDIG_COMP_CNT: 0
	.section	.text._ZN7rocprim17ROCPRIM_400000_NS6detail17trampoline_kernelINS0_14default_configENS1_21merge_config_selectorIiNS0_10empty_typeEEEZNS1_10merge_implIS3_N6thrust23THRUST_200600_302600_NS6detail15normal_iteratorINS9_10device_ptrIKiEEEESF_NSB_INSC_IiEEEEPS5_SI_SI_NS9_4lessIiEEEE10hipError_tPvRmT0_T1_T2_T3_T4_T5_mmT6_P12ihipStream_tbEUlT_E0_NS1_11comp_targetILNS1_3genE8ELNS1_11target_archE1030ELNS1_3gpuE2ELNS1_3repE0EEENS1_30default_config_static_selectorELNS0_4arch9wavefront6targetE1EEEvSP_,"axG",@progbits,_ZN7rocprim17ROCPRIM_400000_NS6detail17trampoline_kernelINS0_14default_configENS1_21merge_config_selectorIiNS0_10empty_typeEEEZNS1_10merge_implIS3_N6thrust23THRUST_200600_302600_NS6detail15normal_iteratorINS9_10device_ptrIKiEEEESF_NSB_INSC_IiEEEEPS5_SI_SI_NS9_4lessIiEEEE10hipError_tPvRmT0_T1_T2_T3_T4_T5_mmT6_P12ihipStream_tbEUlT_E0_NS1_11comp_targetILNS1_3genE8ELNS1_11target_archE1030ELNS1_3gpuE2ELNS1_3repE0EEENS1_30default_config_static_selectorELNS0_4arch9wavefront6targetE1EEEvSP_,comdat
	.protected	_ZN7rocprim17ROCPRIM_400000_NS6detail17trampoline_kernelINS0_14default_configENS1_21merge_config_selectorIiNS0_10empty_typeEEEZNS1_10merge_implIS3_N6thrust23THRUST_200600_302600_NS6detail15normal_iteratorINS9_10device_ptrIKiEEEESF_NSB_INSC_IiEEEEPS5_SI_SI_NS9_4lessIiEEEE10hipError_tPvRmT0_T1_T2_T3_T4_T5_mmT6_P12ihipStream_tbEUlT_E0_NS1_11comp_targetILNS1_3genE8ELNS1_11target_archE1030ELNS1_3gpuE2ELNS1_3repE0EEENS1_30default_config_static_selectorELNS0_4arch9wavefront6targetE1EEEvSP_ ; -- Begin function _ZN7rocprim17ROCPRIM_400000_NS6detail17trampoline_kernelINS0_14default_configENS1_21merge_config_selectorIiNS0_10empty_typeEEEZNS1_10merge_implIS3_N6thrust23THRUST_200600_302600_NS6detail15normal_iteratorINS9_10device_ptrIKiEEEESF_NSB_INSC_IiEEEEPS5_SI_SI_NS9_4lessIiEEEE10hipError_tPvRmT0_T1_T2_T3_T4_T5_mmT6_P12ihipStream_tbEUlT_E0_NS1_11comp_targetILNS1_3genE8ELNS1_11target_archE1030ELNS1_3gpuE2ELNS1_3repE0EEENS1_30default_config_static_selectorELNS0_4arch9wavefront6targetE1EEEvSP_
	.globl	_ZN7rocprim17ROCPRIM_400000_NS6detail17trampoline_kernelINS0_14default_configENS1_21merge_config_selectorIiNS0_10empty_typeEEEZNS1_10merge_implIS3_N6thrust23THRUST_200600_302600_NS6detail15normal_iteratorINS9_10device_ptrIKiEEEESF_NSB_INSC_IiEEEEPS5_SI_SI_NS9_4lessIiEEEE10hipError_tPvRmT0_T1_T2_T3_T4_T5_mmT6_P12ihipStream_tbEUlT_E0_NS1_11comp_targetILNS1_3genE8ELNS1_11target_archE1030ELNS1_3gpuE2ELNS1_3repE0EEENS1_30default_config_static_selectorELNS0_4arch9wavefront6targetE1EEEvSP_
	.p2align	8
	.type	_ZN7rocprim17ROCPRIM_400000_NS6detail17trampoline_kernelINS0_14default_configENS1_21merge_config_selectorIiNS0_10empty_typeEEEZNS1_10merge_implIS3_N6thrust23THRUST_200600_302600_NS6detail15normal_iteratorINS9_10device_ptrIKiEEEESF_NSB_INSC_IiEEEEPS5_SI_SI_NS9_4lessIiEEEE10hipError_tPvRmT0_T1_T2_T3_T4_T5_mmT6_P12ihipStream_tbEUlT_E0_NS1_11comp_targetILNS1_3genE8ELNS1_11target_archE1030ELNS1_3gpuE2ELNS1_3repE0EEENS1_30default_config_static_selectorELNS0_4arch9wavefront6targetE1EEEvSP_,@function
_ZN7rocprim17ROCPRIM_400000_NS6detail17trampoline_kernelINS0_14default_configENS1_21merge_config_selectorIiNS0_10empty_typeEEEZNS1_10merge_implIS3_N6thrust23THRUST_200600_302600_NS6detail15normal_iteratorINS9_10device_ptrIKiEEEESF_NSB_INSC_IiEEEEPS5_SI_SI_NS9_4lessIiEEEE10hipError_tPvRmT0_T1_T2_T3_T4_T5_mmT6_P12ihipStream_tbEUlT_E0_NS1_11comp_targetILNS1_3genE8ELNS1_11target_archE1030ELNS1_3gpuE2ELNS1_3repE0EEENS1_30default_config_static_selectorELNS0_4arch9wavefront6targetE1EEEvSP_: ; @_ZN7rocprim17ROCPRIM_400000_NS6detail17trampoline_kernelINS0_14default_configENS1_21merge_config_selectorIiNS0_10empty_typeEEEZNS1_10merge_implIS3_N6thrust23THRUST_200600_302600_NS6detail15normal_iteratorINS9_10device_ptrIKiEEEESF_NSB_INSC_IiEEEEPS5_SI_SI_NS9_4lessIiEEEE10hipError_tPvRmT0_T1_T2_T3_T4_T5_mmT6_P12ihipStream_tbEUlT_E0_NS1_11comp_targetILNS1_3genE8ELNS1_11target_archE1030ELNS1_3gpuE2ELNS1_3repE0EEENS1_30default_config_static_selectorELNS0_4arch9wavefront6targetE1EEEvSP_
; %bb.0:
	.section	.rodata,"a",@progbits
	.p2align	6, 0x0
	.amdhsa_kernel _ZN7rocprim17ROCPRIM_400000_NS6detail17trampoline_kernelINS0_14default_configENS1_21merge_config_selectorIiNS0_10empty_typeEEEZNS1_10merge_implIS3_N6thrust23THRUST_200600_302600_NS6detail15normal_iteratorINS9_10device_ptrIKiEEEESF_NSB_INSC_IiEEEEPS5_SI_SI_NS9_4lessIiEEEE10hipError_tPvRmT0_T1_T2_T3_T4_T5_mmT6_P12ihipStream_tbEUlT_E0_NS1_11comp_targetILNS1_3genE8ELNS1_11target_archE1030ELNS1_3gpuE2ELNS1_3repE0EEENS1_30default_config_static_selectorELNS0_4arch9wavefront6targetE1EEEvSP_
		.amdhsa_group_segment_fixed_size 0
		.amdhsa_private_segment_fixed_size 0
		.amdhsa_kernarg_size 88
		.amdhsa_user_sgpr_count 6
		.amdhsa_user_sgpr_private_segment_buffer 1
		.amdhsa_user_sgpr_dispatch_ptr 0
		.amdhsa_user_sgpr_queue_ptr 0
		.amdhsa_user_sgpr_kernarg_segment_ptr 1
		.amdhsa_user_sgpr_dispatch_id 0
		.amdhsa_user_sgpr_flat_scratch_init 0
		.amdhsa_user_sgpr_private_segment_size 0
		.amdhsa_uses_dynamic_stack 0
		.amdhsa_system_sgpr_private_segment_wavefront_offset 0
		.amdhsa_system_sgpr_workgroup_id_x 1
		.amdhsa_system_sgpr_workgroup_id_y 0
		.amdhsa_system_sgpr_workgroup_id_z 0
		.amdhsa_system_sgpr_workgroup_info 0
		.amdhsa_system_vgpr_workitem_id 0
		.amdhsa_next_free_vgpr 1
		.amdhsa_next_free_sgpr 0
		.amdhsa_reserve_vcc 0
		.amdhsa_reserve_flat_scratch 0
		.amdhsa_float_round_mode_32 0
		.amdhsa_float_round_mode_16_64 0
		.amdhsa_float_denorm_mode_32 3
		.amdhsa_float_denorm_mode_16_64 3
		.amdhsa_dx10_clamp 1
		.amdhsa_ieee_mode 1
		.amdhsa_fp16_overflow 0
		.amdhsa_exception_fp_ieee_invalid_op 0
		.amdhsa_exception_fp_denorm_src 0
		.amdhsa_exception_fp_ieee_div_zero 0
		.amdhsa_exception_fp_ieee_overflow 0
		.amdhsa_exception_fp_ieee_underflow 0
		.amdhsa_exception_fp_ieee_inexact 0
		.amdhsa_exception_int_div_zero 0
	.end_amdhsa_kernel
	.section	.text._ZN7rocprim17ROCPRIM_400000_NS6detail17trampoline_kernelINS0_14default_configENS1_21merge_config_selectorIiNS0_10empty_typeEEEZNS1_10merge_implIS3_N6thrust23THRUST_200600_302600_NS6detail15normal_iteratorINS9_10device_ptrIKiEEEESF_NSB_INSC_IiEEEEPS5_SI_SI_NS9_4lessIiEEEE10hipError_tPvRmT0_T1_T2_T3_T4_T5_mmT6_P12ihipStream_tbEUlT_E0_NS1_11comp_targetILNS1_3genE8ELNS1_11target_archE1030ELNS1_3gpuE2ELNS1_3repE0EEENS1_30default_config_static_selectorELNS0_4arch9wavefront6targetE1EEEvSP_,"axG",@progbits,_ZN7rocprim17ROCPRIM_400000_NS6detail17trampoline_kernelINS0_14default_configENS1_21merge_config_selectorIiNS0_10empty_typeEEEZNS1_10merge_implIS3_N6thrust23THRUST_200600_302600_NS6detail15normal_iteratorINS9_10device_ptrIKiEEEESF_NSB_INSC_IiEEEEPS5_SI_SI_NS9_4lessIiEEEE10hipError_tPvRmT0_T1_T2_T3_T4_T5_mmT6_P12ihipStream_tbEUlT_E0_NS1_11comp_targetILNS1_3genE8ELNS1_11target_archE1030ELNS1_3gpuE2ELNS1_3repE0EEENS1_30default_config_static_selectorELNS0_4arch9wavefront6targetE1EEEvSP_,comdat
.Lfunc_end18:
	.size	_ZN7rocprim17ROCPRIM_400000_NS6detail17trampoline_kernelINS0_14default_configENS1_21merge_config_selectorIiNS0_10empty_typeEEEZNS1_10merge_implIS3_N6thrust23THRUST_200600_302600_NS6detail15normal_iteratorINS9_10device_ptrIKiEEEESF_NSB_INSC_IiEEEEPS5_SI_SI_NS9_4lessIiEEEE10hipError_tPvRmT0_T1_T2_T3_T4_T5_mmT6_P12ihipStream_tbEUlT_E0_NS1_11comp_targetILNS1_3genE8ELNS1_11target_archE1030ELNS1_3gpuE2ELNS1_3repE0EEENS1_30default_config_static_selectorELNS0_4arch9wavefront6targetE1EEEvSP_, .Lfunc_end18-_ZN7rocprim17ROCPRIM_400000_NS6detail17trampoline_kernelINS0_14default_configENS1_21merge_config_selectorIiNS0_10empty_typeEEEZNS1_10merge_implIS3_N6thrust23THRUST_200600_302600_NS6detail15normal_iteratorINS9_10device_ptrIKiEEEESF_NSB_INSC_IiEEEEPS5_SI_SI_NS9_4lessIiEEEE10hipError_tPvRmT0_T1_T2_T3_T4_T5_mmT6_P12ihipStream_tbEUlT_E0_NS1_11comp_targetILNS1_3genE8ELNS1_11target_archE1030ELNS1_3gpuE2ELNS1_3repE0EEENS1_30default_config_static_selectorELNS0_4arch9wavefront6targetE1EEEvSP_
                                        ; -- End function
	.set _ZN7rocprim17ROCPRIM_400000_NS6detail17trampoline_kernelINS0_14default_configENS1_21merge_config_selectorIiNS0_10empty_typeEEEZNS1_10merge_implIS3_N6thrust23THRUST_200600_302600_NS6detail15normal_iteratorINS9_10device_ptrIKiEEEESF_NSB_INSC_IiEEEEPS5_SI_SI_NS9_4lessIiEEEE10hipError_tPvRmT0_T1_T2_T3_T4_T5_mmT6_P12ihipStream_tbEUlT_E0_NS1_11comp_targetILNS1_3genE8ELNS1_11target_archE1030ELNS1_3gpuE2ELNS1_3repE0EEENS1_30default_config_static_selectorELNS0_4arch9wavefront6targetE1EEEvSP_.num_vgpr, 0
	.set _ZN7rocprim17ROCPRIM_400000_NS6detail17trampoline_kernelINS0_14default_configENS1_21merge_config_selectorIiNS0_10empty_typeEEEZNS1_10merge_implIS3_N6thrust23THRUST_200600_302600_NS6detail15normal_iteratorINS9_10device_ptrIKiEEEESF_NSB_INSC_IiEEEEPS5_SI_SI_NS9_4lessIiEEEE10hipError_tPvRmT0_T1_T2_T3_T4_T5_mmT6_P12ihipStream_tbEUlT_E0_NS1_11comp_targetILNS1_3genE8ELNS1_11target_archE1030ELNS1_3gpuE2ELNS1_3repE0EEENS1_30default_config_static_selectorELNS0_4arch9wavefront6targetE1EEEvSP_.num_agpr, 0
	.set _ZN7rocprim17ROCPRIM_400000_NS6detail17trampoline_kernelINS0_14default_configENS1_21merge_config_selectorIiNS0_10empty_typeEEEZNS1_10merge_implIS3_N6thrust23THRUST_200600_302600_NS6detail15normal_iteratorINS9_10device_ptrIKiEEEESF_NSB_INSC_IiEEEEPS5_SI_SI_NS9_4lessIiEEEE10hipError_tPvRmT0_T1_T2_T3_T4_T5_mmT6_P12ihipStream_tbEUlT_E0_NS1_11comp_targetILNS1_3genE8ELNS1_11target_archE1030ELNS1_3gpuE2ELNS1_3repE0EEENS1_30default_config_static_selectorELNS0_4arch9wavefront6targetE1EEEvSP_.numbered_sgpr, 0
	.set _ZN7rocprim17ROCPRIM_400000_NS6detail17trampoline_kernelINS0_14default_configENS1_21merge_config_selectorIiNS0_10empty_typeEEEZNS1_10merge_implIS3_N6thrust23THRUST_200600_302600_NS6detail15normal_iteratorINS9_10device_ptrIKiEEEESF_NSB_INSC_IiEEEEPS5_SI_SI_NS9_4lessIiEEEE10hipError_tPvRmT0_T1_T2_T3_T4_T5_mmT6_P12ihipStream_tbEUlT_E0_NS1_11comp_targetILNS1_3genE8ELNS1_11target_archE1030ELNS1_3gpuE2ELNS1_3repE0EEENS1_30default_config_static_selectorELNS0_4arch9wavefront6targetE1EEEvSP_.num_named_barrier, 0
	.set _ZN7rocprim17ROCPRIM_400000_NS6detail17trampoline_kernelINS0_14default_configENS1_21merge_config_selectorIiNS0_10empty_typeEEEZNS1_10merge_implIS3_N6thrust23THRUST_200600_302600_NS6detail15normal_iteratorINS9_10device_ptrIKiEEEESF_NSB_INSC_IiEEEEPS5_SI_SI_NS9_4lessIiEEEE10hipError_tPvRmT0_T1_T2_T3_T4_T5_mmT6_P12ihipStream_tbEUlT_E0_NS1_11comp_targetILNS1_3genE8ELNS1_11target_archE1030ELNS1_3gpuE2ELNS1_3repE0EEENS1_30default_config_static_selectorELNS0_4arch9wavefront6targetE1EEEvSP_.private_seg_size, 0
	.set _ZN7rocprim17ROCPRIM_400000_NS6detail17trampoline_kernelINS0_14default_configENS1_21merge_config_selectorIiNS0_10empty_typeEEEZNS1_10merge_implIS3_N6thrust23THRUST_200600_302600_NS6detail15normal_iteratorINS9_10device_ptrIKiEEEESF_NSB_INSC_IiEEEEPS5_SI_SI_NS9_4lessIiEEEE10hipError_tPvRmT0_T1_T2_T3_T4_T5_mmT6_P12ihipStream_tbEUlT_E0_NS1_11comp_targetILNS1_3genE8ELNS1_11target_archE1030ELNS1_3gpuE2ELNS1_3repE0EEENS1_30default_config_static_selectorELNS0_4arch9wavefront6targetE1EEEvSP_.uses_vcc, 0
	.set _ZN7rocprim17ROCPRIM_400000_NS6detail17trampoline_kernelINS0_14default_configENS1_21merge_config_selectorIiNS0_10empty_typeEEEZNS1_10merge_implIS3_N6thrust23THRUST_200600_302600_NS6detail15normal_iteratorINS9_10device_ptrIKiEEEESF_NSB_INSC_IiEEEEPS5_SI_SI_NS9_4lessIiEEEE10hipError_tPvRmT0_T1_T2_T3_T4_T5_mmT6_P12ihipStream_tbEUlT_E0_NS1_11comp_targetILNS1_3genE8ELNS1_11target_archE1030ELNS1_3gpuE2ELNS1_3repE0EEENS1_30default_config_static_selectorELNS0_4arch9wavefront6targetE1EEEvSP_.uses_flat_scratch, 0
	.set _ZN7rocprim17ROCPRIM_400000_NS6detail17trampoline_kernelINS0_14default_configENS1_21merge_config_selectorIiNS0_10empty_typeEEEZNS1_10merge_implIS3_N6thrust23THRUST_200600_302600_NS6detail15normal_iteratorINS9_10device_ptrIKiEEEESF_NSB_INSC_IiEEEEPS5_SI_SI_NS9_4lessIiEEEE10hipError_tPvRmT0_T1_T2_T3_T4_T5_mmT6_P12ihipStream_tbEUlT_E0_NS1_11comp_targetILNS1_3genE8ELNS1_11target_archE1030ELNS1_3gpuE2ELNS1_3repE0EEENS1_30default_config_static_selectorELNS0_4arch9wavefront6targetE1EEEvSP_.has_dyn_sized_stack, 0
	.set _ZN7rocprim17ROCPRIM_400000_NS6detail17trampoline_kernelINS0_14default_configENS1_21merge_config_selectorIiNS0_10empty_typeEEEZNS1_10merge_implIS3_N6thrust23THRUST_200600_302600_NS6detail15normal_iteratorINS9_10device_ptrIKiEEEESF_NSB_INSC_IiEEEEPS5_SI_SI_NS9_4lessIiEEEE10hipError_tPvRmT0_T1_T2_T3_T4_T5_mmT6_P12ihipStream_tbEUlT_E0_NS1_11comp_targetILNS1_3genE8ELNS1_11target_archE1030ELNS1_3gpuE2ELNS1_3repE0EEENS1_30default_config_static_selectorELNS0_4arch9wavefront6targetE1EEEvSP_.has_recursion, 0
	.set _ZN7rocprim17ROCPRIM_400000_NS6detail17trampoline_kernelINS0_14default_configENS1_21merge_config_selectorIiNS0_10empty_typeEEEZNS1_10merge_implIS3_N6thrust23THRUST_200600_302600_NS6detail15normal_iteratorINS9_10device_ptrIKiEEEESF_NSB_INSC_IiEEEEPS5_SI_SI_NS9_4lessIiEEEE10hipError_tPvRmT0_T1_T2_T3_T4_T5_mmT6_P12ihipStream_tbEUlT_E0_NS1_11comp_targetILNS1_3genE8ELNS1_11target_archE1030ELNS1_3gpuE2ELNS1_3repE0EEENS1_30default_config_static_selectorELNS0_4arch9wavefront6targetE1EEEvSP_.has_indirect_call, 0
	.section	.AMDGPU.csdata,"",@progbits
; Kernel info:
; codeLenInByte = 0
; TotalNumSgprs: 4
; NumVgprs: 0
; ScratchSize: 0
; MemoryBound: 0
; FloatMode: 240
; IeeeMode: 1
; LDSByteSize: 0 bytes/workgroup (compile time only)
; SGPRBlocks: 0
; VGPRBlocks: 0
; NumSGPRsForWavesPerEU: 4
; NumVGPRsForWavesPerEU: 1
; Occupancy: 10
; WaveLimiterHint : 0
; COMPUTE_PGM_RSRC2:SCRATCH_EN: 0
; COMPUTE_PGM_RSRC2:USER_SGPR: 6
; COMPUTE_PGM_RSRC2:TRAP_HANDLER: 0
; COMPUTE_PGM_RSRC2:TGID_X_EN: 1
; COMPUTE_PGM_RSRC2:TGID_Y_EN: 0
; COMPUTE_PGM_RSRC2:TGID_Z_EN: 0
; COMPUTE_PGM_RSRC2:TIDIG_COMP_CNT: 0
	.section	.text._ZN7rocprim17ROCPRIM_400000_NS6detail31init_lookback_scan_state_kernelINS1_19lookback_scan_stateIlLb0ELb1EEENS1_16ordered_block_idIjEEEEvT_jT0_jPNS7_10value_typeE,"axG",@progbits,_ZN7rocprim17ROCPRIM_400000_NS6detail31init_lookback_scan_state_kernelINS1_19lookback_scan_stateIlLb0ELb1EEENS1_16ordered_block_idIjEEEEvT_jT0_jPNS7_10value_typeE,comdat
	.protected	_ZN7rocprim17ROCPRIM_400000_NS6detail31init_lookback_scan_state_kernelINS1_19lookback_scan_stateIlLb0ELb1EEENS1_16ordered_block_idIjEEEEvT_jT0_jPNS7_10value_typeE ; -- Begin function _ZN7rocprim17ROCPRIM_400000_NS6detail31init_lookback_scan_state_kernelINS1_19lookback_scan_stateIlLb0ELb1EEENS1_16ordered_block_idIjEEEEvT_jT0_jPNS7_10value_typeE
	.globl	_ZN7rocprim17ROCPRIM_400000_NS6detail31init_lookback_scan_state_kernelINS1_19lookback_scan_stateIlLb0ELb1EEENS1_16ordered_block_idIjEEEEvT_jT0_jPNS7_10value_typeE
	.p2align	8
	.type	_ZN7rocprim17ROCPRIM_400000_NS6detail31init_lookback_scan_state_kernelINS1_19lookback_scan_stateIlLb0ELb1EEENS1_16ordered_block_idIjEEEEvT_jT0_jPNS7_10value_typeE,@function
_ZN7rocprim17ROCPRIM_400000_NS6detail31init_lookback_scan_state_kernelINS1_19lookback_scan_stateIlLb0ELb1EEENS1_16ordered_block_idIjEEEEvT_jT0_jPNS7_10value_typeE: ; @_ZN7rocprim17ROCPRIM_400000_NS6detail31init_lookback_scan_state_kernelINS1_19lookback_scan_stateIlLb0ELb1EEENS1_16ordered_block_idIjEEEEvT_jT0_jPNS7_10value_typeE
; %bb.0:
	s_load_dword s7, s[4:5], 0x34
	s_load_dwordx2 s[2:3], s[4:5], 0x20
	s_load_dwordx2 s[0:1], s[4:5], 0x0
	s_load_dword s14, s[4:5], 0x8
	s_waitcnt lgkmcnt(0)
	s_and_b32 s7, s7, 0xffff
	s_mul_i32 s6, s6, s7
	s_cmp_eq_u64 s[2:3], 0
	v_add_u32_e32 v0, s6, v0
	s_cbranch_scc1 .LBB19_8
; %bb.1:
	s_load_dword s8, s[4:5], 0x18
	s_mov_b32 s9, 0
	s_waitcnt lgkmcnt(0)
	s_cmp_lt_u32 s8, s14
	s_cselect_b32 s6, s8, 0
	v_cmp_eq_u32_e32 vcc, s6, v0
	s_and_saveexec_b64 s[6:7], vcc
	s_cbranch_execz .LBB19_7
; %bb.2:
	s_add_i32 s8, s8, 64
	s_lshl_b64 s[8:9], s[8:9], 4
	s_add_u32 s12, s0, s8
	s_addc_u32 s13, s1, s9
	v_mov_b32_e32 v1, s12
	v_mov_b32_e32 v2, s13
	;;#ASMSTART
	global_load_dwordx4 v[1:4], v[1:2] off glc	
s_waitcnt vmcnt(0)
	;;#ASMEND
	v_and_b32_e32 v4, 0xff, v3
	v_mov_b32_e32 v5, 0
	v_cmp_eq_u64_e32 vcc, 0, v[4:5]
	s_mov_b64 s[10:11], 0
	s_and_saveexec_b64 s[8:9], vcc
	s_cbranch_execz .LBB19_6
; %bb.3:
	v_mov_b32_e32 v6, s12
	v_mov_b32_e32 v7, s13
.LBB19_4:                               ; =>This Inner Loop Header: Depth=1
	;;#ASMSTART
	global_load_dwordx4 v[1:4], v[6:7] off glc	
s_waitcnt vmcnt(0)
	;;#ASMEND
	v_and_b32_e32 v4, 0xff, v3
	v_cmp_ne_u64_e32 vcc, 0, v[4:5]
	s_or_b64 s[10:11], vcc, s[10:11]
	s_andn2_b64 exec, exec, s[10:11]
	s_cbranch_execnz .LBB19_4
; %bb.5:
	s_or_b64 exec, exec, s[10:11]
.LBB19_6:
	s_or_b64 exec, exec, s[8:9]
	v_mov_b32_e32 v3, 0
	global_store_dwordx2 v3, v[1:2], s[2:3]
.LBB19_7:
	s_or_b64 exec, exec, s[6:7]
.LBB19_8:
	v_cmp_eq_u32_e32 vcc, 0, v0
	s_and_saveexec_b64 s[2:3], vcc
	s_cbranch_execnz .LBB19_12
; %bb.9:
	s_or_b64 exec, exec, s[2:3]
	v_cmp_gt_u32_e32 vcc, s14, v0
	s_and_saveexec_b64 s[2:3], vcc
	s_cbranch_execnz .LBB19_13
.LBB19_10:
	s_or_b64 exec, exec, s[2:3]
	v_cmp_gt_u32_e32 vcc, 64, v0
	s_and_saveexec_b64 s[2:3], vcc
	s_cbranch_execnz .LBB19_14
.LBB19_11:
	s_endpgm
.LBB19_12:
	s_load_dwordx2 s[4:5], s[4:5], 0x10
	v_mov_b32_e32 v1, 0
	s_waitcnt lgkmcnt(0)
	global_store_dword v1, v1, s[4:5]
	s_or_b64 exec, exec, s[2:3]
	v_cmp_gt_u32_e32 vcc, s14, v0
	s_and_saveexec_b64 s[2:3], vcc
	s_cbranch_execz .LBB19_10
.LBB19_13:
	v_add_u32_e32 v1, 64, v0
	v_mov_b32_e32 v2, 0
	v_lshlrev_b64 v[3:4], 4, v[1:2]
	v_mov_b32_e32 v1, s1
	v_add_co_u32_e32 v5, vcc, s0, v3
	v_addc_co_u32_e32 v6, vcc, v1, v4, vcc
	v_mov_b32_e32 v1, v2
	v_mov_b32_e32 v3, v2
	;; [unrolled: 1-line block ×3, first 2 shown]
	global_store_dwordx4 v[5:6], v[1:4], off
	s_or_b64 exec, exec, s[2:3]
	v_cmp_gt_u32_e32 vcc, 64, v0
	s_and_saveexec_b64 s[2:3], vcc
	s_cbranch_execz .LBB19_11
.LBB19_14:
	v_mov_b32_e32 v1, 0
	v_lshlrev_b64 v[2:3], 4, v[0:1]
	v_mov_b32_e32 v0, s1
	v_add_co_u32_e32 v4, vcc, s0, v2
	v_addc_co_u32_e32 v5, vcc, v0, v3, vcc
	v_mov_b32_e32 v2, 0xff
	v_mov_b32_e32 v0, v1
	;; [unrolled: 1-line block ×3, first 2 shown]
	global_store_dwordx4 v[4:5], v[0:3], off
	s_endpgm
	.section	.rodata,"a",@progbits
	.p2align	6, 0x0
	.amdhsa_kernel _ZN7rocprim17ROCPRIM_400000_NS6detail31init_lookback_scan_state_kernelINS1_19lookback_scan_stateIlLb0ELb1EEENS1_16ordered_block_idIjEEEEvT_jT0_jPNS7_10value_typeE
		.amdhsa_group_segment_fixed_size 0
		.amdhsa_private_segment_fixed_size 0
		.amdhsa_kernarg_size 296
		.amdhsa_user_sgpr_count 6
		.amdhsa_user_sgpr_private_segment_buffer 1
		.amdhsa_user_sgpr_dispatch_ptr 0
		.amdhsa_user_sgpr_queue_ptr 0
		.amdhsa_user_sgpr_kernarg_segment_ptr 1
		.amdhsa_user_sgpr_dispatch_id 0
		.amdhsa_user_sgpr_flat_scratch_init 0
		.amdhsa_user_sgpr_private_segment_size 0
		.amdhsa_uses_dynamic_stack 0
		.amdhsa_system_sgpr_private_segment_wavefront_offset 0
		.amdhsa_system_sgpr_workgroup_id_x 1
		.amdhsa_system_sgpr_workgroup_id_y 0
		.amdhsa_system_sgpr_workgroup_id_z 0
		.amdhsa_system_sgpr_workgroup_info 0
		.amdhsa_system_vgpr_workitem_id 0
		.amdhsa_next_free_vgpr 8
		.amdhsa_next_free_sgpr 15
		.amdhsa_reserve_vcc 1
		.amdhsa_reserve_flat_scratch 0
		.amdhsa_float_round_mode_32 0
		.amdhsa_float_round_mode_16_64 0
		.amdhsa_float_denorm_mode_32 3
		.amdhsa_float_denorm_mode_16_64 3
		.amdhsa_dx10_clamp 1
		.amdhsa_ieee_mode 1
		.amdhsa_fp16_overflow 0
		.amdhsa_exception_fp_ieee_invalid_op 0
		.amdhsa_exception_fp_denorm_src 0
		.amdhsa_exception_fp_ieee_div_zero 0
		.amdhsa_exception_fp_ieee_overflow 0
		.amdhsa_exception_fp_ieee_underflow 0
		.amdhsa_exception_fp_ieee_inexact 0
		.amdhsa_exception_int_div_zero 0
	.end_amdhsa_kernel
	.section	.text._ZN7rocprim17ROCPRIM_400000_NS6detail31init_lookback_scan_state_kernelINS1_19lookback_scan_stateIlLb0ELb1EEENS1_16ordered_block_idIjEEEEvT_jT0_jPNS7_10value_typeE,"axG",@progbits,_ZN7rocprim17ROCPRIM_400000_NS6detail31init_lookback_scan_state_kernelINS1_19lookback_scan_stateIlLb0ELb1EEENS1_16ordered_block_idIjEEEEvT_jT0_jPNS7_10value_typeE,comdat
.Lfunc_end19:
	.size	_ZN7rocprim17ROCPRIM_400000_NS6detail31init_lookback_scan_state_kernelINS1_19lookback_scan_stateIlLb0ELb1EEENS1_16ordered_block_idIjEEEEvT_jT0_jPNS7_10value_typeE, .Lfunc_end19-_ZN7rocprim17ROCPRIM_400000_NS6detail31init_lookback_scan_state_kernelINS1_19lookback_scan_stateIlLb0ELb1EEENS1_16ordered_block_idIjEEEEvT_jT0_jPNS7_10value_typeE
                                        ; -- End function
	.set _ZN7rocprim17ROCPRIM_400000_NS6detail31init_lookback_scan_state_kernelINS1_19lookback_scan_stateIlLb0ELb1EEENS1_16ordered_block_idIjEEEEvT_jT0_jPNS7_10value_typeE.num_vgpr, 8
	.set _ZN7rocprim17ROCPRIM_400000_NS6detail31init_lookback_scan_state_kernelINS1_19lookback_scan_stateIlLb0ELb1EEENS1_16ordered_block_idIjEEEEvT_jT0_jPNS7_10value_typeE.num_agpr, 0
	.set _ZN7rocprim17ROCPRIM_400000_NS6detail31init_lookback_scan_state_kernelINS1_19lookback_scan_stateIlLb0ELb1EEENS1_16ordered_block_idIjEEEEvT_jT0_jPNS7_10value_typeE.numbered_sgpr, 15
	.set _ZN7rocprim17ROCPRIM_400000_NS6detail31init_lookback_scan_state_kernelINS1_19lookback_scan_stateIlLb0ELb1EEENS1_16ordered_block_idIjEEEEvT_jT0_jPNS7_10value_typeE.num_named_barrier, 0
	.set _ZN7rocprim17ROCPRIM_400000_NS6detail31init_lookback_scan_state_kernelINS1_19lookback_scan_stateIlLb0ELb1EEENS1_16ordered_block_idIjEEEEvT_jT0_jPNS7_10value_typeE.private_seg_size, 0
	.set _ZN7rocprim17ROCPRIM_400000_NS6detail31init_lookback_scan_state_kernelINS1_19lookback_scan_stateIlLb0ELb1EEENS1_16ordered_block_idIjEEEEvT_jT0_jPNS7_10value_typeE.uses_vcc, 1
	.set _ZN7rocprim17ROCPRIM_400000_NS6detail31init_lookback_scan_state_kernelINS1_19lookback_scan_stateIlLb0ELb1EEENS1_16ordered_block_idIjEEEEvT_jT0_jPNS7_10value_typeE.uses_flat_scratch, 0
	.set _ZN7rocprim17ROCPRIM_400000_NS6detail31init_lookback_scan_state_kernelINS1_19lookback_scan_stateIlLb0ELb1EEENS1_16ordered_block_idIjEEEEvT_jT0_jPNS7_10value_typeE.has_dyn_sized_stack, 0
	.set _ZN7rocprim17ROCPRIM_400000_NS6detail31init_lookback_scan_state_kernelINS1_19lookback_scan_stateIlLb0ELb1EEENS1_16ordered_block_idIjEEEEvT_jT0_jPNS7_10value_typeE.has_recursion, 0
	.set _ZN7rocprim17ROCPRIM_400000_NS6detail31init_lookback_scan_state_kernelINS1_19lookback_scan_stateIlLb0ELb1EEENS1_16ordered_block_idIjEEEEvT_jT0_jPNS7_10value_typeE.has_indirect_call, 0
	.section	.AMDGPU.csdata,"",@progbits
; Kernel info:
; codeLenInByte = 440
; TotalNumSgprs: 19
; NumVgprs: 8
; ScratchSize: 0
; MemoryBound: 0
; FloatMode: 240
; IeeeMode: 1
; LDSByteSize: 0 bytes/workgroup (compile time only)
; SGPRBlocks: 2
; VGPRBlocks: 1
; NumSGPRsForWavesPerEU: 19
; NumVGPRsForWavesPerEU: 8
; Occupancy: 10
; WaveLimiterHint : 0
; COMPUTE_PGM_RSRC2:SCRATCH_EN: 0
; COMPUTE_PGM_RSRC2:USER_SGPR: 6
; COMPUTE_PGM_RSRC2:TRAP_HANDLER: 0
; COMPUTE_PGM_RSRC2:TGID_X_EN: 1
; COMPUTE_PGM_RSRC2:TGID_Y_EN: 0
; COMPUTE_PGM_RSRC2:TGID_Z_EN: 0
; COMPUTE_PGM_RSRC2:TIDIG_COMP_CNT: 0
	.section	.text._ZN6thrust23THRUST_200600_302600_NS11hip_rocprim14__parallel_for6kernelILj256EZNS1_16__set_operations9doit_stepILb0ENS0_6detail15normal_iteratorINS0_10device_ptrIKiEEEESB_PiSC_lNS7_INS8_IiEEEESC_NS0_4lessIiEENS4_16serial_set_unionEEE10hipError_tPvRmT0_T1_T2_T3_T4_SP_T5_T6_PSP_T7_T8_P12ihipStream_tbEUllE_jLj1EEEvSL_SM_SM_,"axG",@progbits,_ZN6thrust23THRUST_200600_302600_NS11hip_rocprim14__parallel_for6kernelILj256EZNS1_16__set_operations9doit_stepILb0ENS0_6detail15normal_iteratorINS0_10device_ptrIKiEEEESB_PiSC_lNS7_INS8_IiEEEESC_NS0_4lessIiEENS4_16serial_set_unionEEE10hipError_tPvRmT0_T1_T2_T3_T4_SP_T5_T6_PSP_T7_T8_P12ihipStream_tbEUllE_jLj1EEEvSL_SM_SM_,comdat
	.protected	_ZN6thrust23THRUST_200600_302600_NS11hip_rocprim14__parallel_for6kernelILj256EZNS1_16__set_operations9doit_stepILb0ENS0_6detail15normal_iteratorINS0_10device_ptrIKiEEEESB_PiSC_lNS7_INS8_IiEEEESC_NS0_4lessIiEENS4_16serial_set_unionEEE10hipError_tPvRmT0_T1_T2_T3_T4_SP_T5_T6_PSP_T7_T8_P12ihipStream_tbEUllE_jLj1EEEvSL_SM_SM_ ; -- Begin function _ZN6thrust23THRUST_200600_302600_NS11hip_rocprim14__parallel_for6kernelILj256EZNS1_16__set_operations9doit_stepILb0ENS0_6detail15normal_iteratorINS0_10device_ptrIKiEEEESB_PiSC_lNS7_INS8_IiEEEESC_NS0_4lessIiEENS4_16serial_set_unionEEE10hipError_tPvRmT0_T1_T2_T3_T4_SP_T5_T6_PSP_T7_T8_P12ihipStream_tbEUllE_jLj1EEEvSL_SM_SM_
	.globl	_ZN6thrust23THRUST_200600_302600_NS11hip_rocprim14__parallel_for6kernelILj256EZNS1_16__set_operations9doit_stepILb0ENS0_6detail15normal_iteratorINS0_10device_ptrIKiEEEESB_PiSC_lNS7_INS8_IiEEEESC_NS0_4lessIiEENS4_16serial_set_unionEEE10hipError_tPvRmT0_T1_T2_T3_T4_SP_T5_T6_PSP_T7_T8_P12ihipStream_tbEUllE_jLj1EEEvSL_SM_SM_
	.p2align	8
	.type	_ZN6thrust23THRUST_200600_302600_NS11hip_rocprim14__parallel_for6kernelILj256EZNS1_16__set_operations9doit_stepILb0ENS0_6detail15normal_iteratorINS0_10device_ptrIKiEEEESB_PiSC_lNS7_INS8_IiEEEESC_NS0_4lessIiEENS4_16serial_set_unionEEE10hipError_tPvRmT0_T1_T2_T3_T4_SP_T5_T6_PSP_T7_T8_P12ihipStream_tbEUllE_jLj1EEEvSL_SM_SM_,@function
_ZN6thrust23THRUST_200600_302600_NS11hip_rocprim14__parallel_for6kernelILj256EZNS1_16__set_operations9doit_stepILb0ENS0_6detail15normal_iteratorINS0_10device_ptrIKiEEEESB_PiSC_lNS7_INS8_IiEEEESC_NS0_4lessIiEENS4_16serial_set_unionEEE10hipError_tPvRmT0_T1_T2_T3_T4_SP_T5_T6_PSP_T7_T8_P12ihipStream_tbEUllE_jLj1EEEvSL_SM_SM_: ; @_ZN6thrust23THRUST_200600_302600_NS11hip_rocprim14__parallel_for6kernelILj256EZNS1_16__set_operations9doit_stepILb0ENS0_6detail15normal_iteratorINS0_10device_ptrIKiEEEESB_PiSC_lNS7_INS8_IiEEEESC_NS0_4lessIiEENS4_16serial_set_unionEEE10hipError_tPvRmT0_T1_T2_T3_T4_SP_T5_T6_PSP_T7_T8_P12ihipStream_tbEUllE_jLj1EEEvSL_SM_SM_
; %bb.0:
	s_load_dwordx2 s[0:1], s[4:5], 0x30
	s_load_dwordx2 s[2:3], s[4:5], 0x20
	s_load_dwordx8 s[8:15], s[4:5], 0x0
	s_lshl_b32 s4, s6, 8
	s_waitcnt lgkmcnt(0)
	s_add_i32 s18, s1, s4
	s_sub_i32 s4, s0, s18
	s_cmpk_gt_u32 s4, 0xff
	s_mov_b64 s[0:1], -1
	s_cbranch_scc0 .LBB20_3
; %bb.1:
	s_andn2_b64 vcc, exec, s[0:1]
	s_cbranch_vccz .LBB20_40
.LBB20_2:
	s_endpgm
.LBB20_3:
	v_cmp_gt_u32_e32 vcc, s4, v0
	s_and_saveexec_b64 s[4:5], vcc
	s_cbranch_execz .LBB20_39
; %bb.4:
	v_add_u32_e32 v3, s18, v0
	s_movk_i32 s0, 0xfff
	v_mad_u64_u32 v[1:2], s[0:1], v3, s0, 0
	s_add_u32 s0, s10, s8
	s_addc_u32 s1, s11, s9
	v_cmp_lt_i64_e32 vcc, s[0:1], v[1:2]
	v_mov_b32_e32 v5, s1
	v_cndmask_b32_e32 v6, v2, v5, vcc
	v_mov_b32_e32 v2, s0
	v_cndmask_b32_e32 v5, v1, v2, vcc
	v_mov_b32_e32 v2, s11
	v_subrev_co_u32_e32 v1, vcc, s10, v5
	v_subb_co_u32_e32 v2, vcc, v6, v2, vcc
	v_cmp_lt_i64_e32 vcc, 0, v[1:2]
	v_mov_b32_e32 v7, s9
	v_cndmask_b32_e32 v2, 0, v2, vcc
	v_cndmask_b32_e32 v1, 0, v1, vcc
	v_cmp_lt_i64_e32 vcc, s[8:9], v[5:6]
	v_mov_b32_e32 v4, 0
	v_cndmask_b32_e32 v8, v6, v7, vcc
	v_mov_b32_e32 v7, s8
	v_cndmask_b32_e32 v7, v5, v7, vcc
	v_cmp_lt_i64_e32 vcc, v[1:2], v[7:8]
	s_mov_b64 s[6:7], 0
	s_and_saveexec_b64 s[0:1], vcc
	s_cbranch_execz .LBB20_8
; %bb.5:
	v_lshlrev_b64 v[9:10], 2, v[5:6]
	v_mov_b32_e32 v11, s3
	v_add_co_u32_e32 v9, vcc, s2, v9
	v_addc_co_u32_e32 v10, vcc, v11, v10, vcc
.LBB20_6:                               ; =>This Inner Loop Header: Depth=1
	v_add_co_u32_e32 v11, vcc, v7, v1
	v_addc_co_u32_e32 v12, vcc, v8, v2, vcc
	v_lshrrev_b64 v[11:12], 1, v[11:12]
	v_mov_b32_e32 v16, s15
	v_lshlrev_b64 v[13:14], 2, v[11:12]
	v_add_co_u32_e32 v15, vcc, s14, v13
	v_addc_co_u32_e32 v16, vcc, v16, v14, vcc
	v_xor_b32_e32 v13, -4, v13
	v_xor_b32_e32 v14, -1, v14
	v_add_co_u32_e32 v13, vcc, v9, v13
	v_addc_co_u32_e32 v14, vcc, v10, v14, vcc
	global_load_dword v15, v[15:16], off
	s_nop 0
	global_load_dword v13, v[13:14], off
	v_add_co_u32_e32 v14, vcc, 1, v11
	v_addc_co_u32_e32 v16, vcc, 0, v12, vcc
	s_waitcnt vmcnt(0)
	v_cmp_lt_i32_e32 vcc, v13, v15
	v_cndmask_b32_e32 v8, v8, v12, vcc
	v_cndmask_b32_e32 v7, v7, v11, vcc
	;; [unrolled: 1-line block ×4, first 2 shown]
	v_cmp_ge_i64_e32 vcc, v[1:2], v[7:8]
	s_or_b64 s[6:7], vcc, s[6:7]
	s_andn2_b64 exec, exec, s[6:7]
	s_cbranch_execnz .LBB20_6
; %bb.7:
	s_or_b64 exec, exec, s[6:7]
.LBB20_8:
	s_or_b64 exec, exec, s[0:1]
	v_sub_co_u32_e32 v11, vcc, v5, v1
	v_subb_co_u32_e32 v12, vcc, v6, v2, vcc
	v_cmp_gt_i64_e32 vcc, s[10:11], v[11:12]
	v_mov_b32_e32 v9, 0
	v_mov_b32_e32 v10, 0
	s_and_saveexec_b64 s[6:7], vcc
	s_cbranch_execz .LBB20_38
; %bb.9:
	v_lshlrev_b64 v[7:8], 2, v[11:12]
	v_mov_b32_e32 v10, s3
	v_add_co_u32_e32 v9, vcc, s2, v7
	v_addc_co_u32_e32 v10, vcc, v10, v8, vcc
	global_load_dword v19, v[9:10], off
	v_mov_b32_e32 v7, 0
	v_cmp_lt_i64_e32 vcc, 0, v[1:2]
	v_mov_b32_e32 v13, 0
	v_mov_b32_e32 v8, 0
	;; [unrolled: 1-line block ×3, first 2 shown]
	s_and_saveexec_b64 s[0:1], vcc
	s_cbranch_execnz .LBB20_14
; %bb.10:
	s_or_b64 exec, exec, s[0:1]
	v_cmp_lt_u64_e32 vcc, v[7:8], v[13:14]
	s_and_saveexec_b64 s[0:1], vcc
	s_cbranch_execnz .LBB20_15
.LBB20_11:
	s_or_b64 exec, exec, s[0:1]
	v_cmp_lt_u64_e32 vcc, v[7:8], v[13:14]
	s_and_saveexec_b64 s[0:1], vcc
	s_cbranch_execnz .LBB20_16
.LBB20_12:
	s_or_b64 exec, exec, s[0:1]
	v_cmp_lt_u64_e32 vcc, v[7:8], v[13:14]
	s_and_saveexec_b64 s[0:1], vcc
	s_cbranch_execnz .LBB20_17
.LBB20_13:
	s_or_b64 exec, exec, s[0:1]
	v_cmp_lt_u64_e32 vcc, v[7:8], v[13:14]
	s_and_saveexec_b64 s[0:1], vcc
	s_cbranch_execnz .LBB20_18
	s_branch .LBB20_21
.LBB20_14:
	s_movk_i32 s19, 0x1ff
	v_mad_u64_u32 v[7:8], s[16:17], v1, s19, 0
	v_mov_b32_e32 v15, s15
	v_mad_u64_u32 v[13:14], s[16:17], v2, s19, v[8:9]
	v_mov_b32_e32 v8, v13
	v_lshrrev_b64 v[13:14], 9, v[7:8]
	v_lshlrev_b64 v[7:8], 2, v[13:14]
	v_add_co_u32_e32 v7, vcc, s14, v7
	v_addc_co_u32_e32 v8, vcc, v15, v8, vcc
	global_load_dword v7, v[7:8], off
	v_add_co_u32_e32 v15, vcc, 1, v13
	v_addc_co_u32_e32 v8, vcc, 0, v14, vcc
	s_waitcnt vmcnt(0)
	v_cmp_lt_i32_e32 vcc, v7, v19
	v_cndmask_b32_e32 v8, 0, v8, vcc
	v_cndmask_b32_e32 v7, 0, v15, vcc
	;; [unrolled: 1-line block ×4, first 2 shown]
	s_or_b64 exec, exec, s[0:1]
	v_cmp_lt_u64_e32 vcc, v[7:8], v[13:14]
	s_and_saveexec_b64 s[0:1], vcc
	s_cbranch_execz .LBB20_11
.LBB20_15:
	s_movk_i32 s19, 0x7f
	v_mad_u64_u32 v[15:16], s[16:17], v13, s19, v[7:8]
	v_mov_b32_e32 v20, s15
	v_mad_u64_u32 v[16:17], s[16:17], v14, s19, v[16:17]
	v_lshrrev_b64 v[15:16], 7, v[15:16]
	v_lshlrev_b64 v[17:18], 2, v[15:16]
	v_add_co_u32_e32 v17, vcc, s14, v17
	v_addc_co_u32_e32 v18, vcc, v20, v18, vcc
	global_load_dword v17, v[17:18], off
	v_add_co_u32_e32 v18, vcc, 1, v15
	v_addc_co_u32_e32 v20, vcc, 0, v16, vcc
	s_waitcnt vmcnt(0)
	v_cmp_lt_i32_e32 vcc, v17, v19
	v_cndmask_b32_e32 v8, v8, v20, vcc
	v_cndmask_b32_e32 v7, v7, v18, vcc
	;; [unrolled: 1-line block ×4, first 2 shown]
	s_or_b64 exec, exec, s[0:1]
	v_cmp_lt_u64_e32 vcc, v[7:8], v[13:14]
	s_and_saveexec_b64 s[0:1], vcc
	s_cbranch_execz .LBB20_12
.LBB20_16:
	v_mad_u64_u32 v[15:16], s[16:17], v13, 31, v[7:8]
	v_mov_b32_e32 v20, s15
	v_mad_u64_u32 v[16:17], s[16:17], v14, 31, v[16:17]
	v_lshrrev_b64 v[15:16], 5, v[15:16]
	v_lshlrev_b64 v[17:18], 2, v[15:16]
	v_add_co_u32_e32 v17, vcc, s14, v17
	v_addc_co_u32_e32 v18, vcc, v20, v18, vcc
	global_load_dword v17, v[17:18], off
	v_add_co_u32_e32 v18, vcc, 1, v15
	v_addc_co_u32_e32 v20, vcc, 0, v16, vcc
	s_waitcnt vmcnt(0)
	v_cmp_lt_i32_e32 vcc, v17, v19
	v_cndmask_b32_e32 v8, v8, v20, vcc
	v_cndmask_b32_e32 v7, v7, v18, vcc
	;; [unrolled: 1-line block ×4, first 2 shown]
	s_or_b64 exec, exec, s[0:1]
	v_cmp_lt_u64_e32 vcc, v[7:8], v[13:14]
	s_and_saveexec_b64 s[0:1], vcc
	s_cbranch_execz .LBB20_13
.LBB20_17:
	v_mad_u64_u32 v[15:16], s[16:17], v13, 15, v[7:8]
	v_mov_b32_e32 v20, s15
	v_mad_u64_u32 v[16:17], s[16:17], v14, 15, v[16:17]
	v_lshrrev_b64 v[15:16], 4, v[15:16]
	v_lshlrev_b64 v[17:18], 2, v[15:16]
	v_add_co_u32_e32 v17, vcc, s14, v17
	v_addc_co_u32_e32 v18, vcc, v20, v18, vcc
	global_load_dword v17, v[17:18], off
	v_add_co_u32_e32 v18, vcc, 1, v15
	v_addc_co_u32_e32 v20, vcc, 0, v16, vcc
	s_waitcnt vmcnt(0)
	v_cmp_lt_i32_e32 vcc, v17, v19
	v_cndmask_b32_e32 v8, v8, v20, vcc
	v_cndmask_b32_e32 v7, v7, v18, vcc
	;; [unrolled: 1-line block ×4, first 2 shown]
	s_or_b64 exec, exec, s[0:1]
	v_cmp_lt_u64_e32 vcc, v[7:8], v[13:14]
	s_and_saveexec_b64 s[0:1], vcc
	s_cbranch_execz .LBB20_21
.LBB20_18:
	s_mov_b64 s[16:17], 0
	v_mov_b32_e32 v15, s15
.LBB20_19:                              ; =>This Inner Loop Header: Depth=1
	v_add_co_u32_e32 v16, vcc, v7, v13
	v_addc_co_u32_e32 v17, vcc, v8, v14, vcc
	v_lshrrev_b64 v[16:17], 1, v[16:17]
	v_lshlrev_b64 v[20:21], 2, v[16:17]
	v_add_co_u32_e32 v20, vcc, s14, v20
	v_addc_co_u32_e32 v21, vcc, v15, v21, vcc
	global_load_dword v18, v[20:21], off
	v_add_co_u32_e32 v20, vcc, 1, v16
	v_addc_co_u32_e32 v21, vcc, 0, v17, vcc
	s_waitcnt vmcnt(0)
	v_cmp_lt_i32_e32 vcc, v18, v19
	v_cndmask_b32_e32 v8, v8, v21, vcc
	v_cndmask_b32_e32 v7, v7, v20, vcc
	;; [unrolled: 1-line block ×4, first 2 shown]
	v_cmp_ge_i64_e32 vcc, v[7:8], v[13:14]
	s_or_b64 s[16:17], vcc, s[16:17]
	s_andn2_b64 exec, exec, s[16:17]
	s_cbranch_execnz .LBB20_19
; %bb.20:
	s_or_b64 exec, exec, s[16:17]
.LBB20_21:
	s_or_b64 exec, exec, s[0:1]
	v_mov_b32_e32 v13, 0
	v_cmp_lt_i64_e32 vcc, 0, v[11:12]
	v_mov_b32_e32 v16, v12
	v_mov_b32_e32 v14, 0
	;; [unrolled: 1-line block ×3, first 2 shown]
	s_and_saveexec_b64 s[0:1], vcc
	s_cbranch_execnz .LBB20_26
; %bb.22:
	s_or_b64 exec, exec, s[0:1]
	v_cmp_lt_i64_e32 vcc, v[13:14], v[15:16]
	s_and_saveexec_b64 s[0:1], vcc
	s_cbranch_execnz .LBB20_27
.LBB20_23:
	s_or_b64 exec, exec, s[0:1]
	v_cmp_lt_i64_e32 vcc, v[13:14], v[15:16]
	s_and_saveexec_b64 s[0:1], vcc
	s_cbranch_execnz .LBB20_28
.LBB20_24:
	s_or_b64 exec, exec, s[0:1]
	v_cmp_lt_i64_e32 vcc, v[13:14], v[15:16]
	s_and_saveexec_b64 s[0:1], vcc
	s_cbranch_execnz .LBB20_29
.LBB20_25:
	s_or_b64 exec, exec, s[0:1]
	v_cmp_lt_i64_e32 vcc, v[13:14], v[15:16]
	s_and_saveexec_b64 s[0:1], vcc
	s_cbranch_execnz .LBB20_30
	s_branch .LBB20_33
.LBB20_26:
	s_movk_i32 s19, 0x1ff
	v_mad_u64_u32 v[13:14], s[16:17], v11, s19, 0
	v_mov_b32_e32 v17, s3
	v_mad_u64_u32 v[14:15], s[16:17], v12, s19, v[14:15]
	v_lshrrev_b64 v[15:16], 9, v[13:14]
	v_lshlrev_b64 v[13:14], 2, v[15:16]
	v_add_co_u32_e32 v13, vcc, s2, v13
	v_addc_co_u32_e32 v14, vcc, v17, v14, vcc
	global_load_dword v13, v[13:14], off
	v_add_co_u32_e32 v17, vcc, 1, v15
	v_addc_co_u32_e32 v14, vcc, 0, v16, vcc
	s_waitcnt vmcnt(0)
	v_cmp_lt_i32_e32 vcc, v13, v19
	v_cndmask_b32_e32 v14, 0, v14, vcc
	v_cndmask_b32_e32 v13, 0, v17, vcc
	;; [unrolled: 1-line block ×4, first 2 shown]
	s_or_b64 exec, exec, s[0:1]
	v_cmp_lt_i64_e32 vcc, v[13:14], v[15:16]
	s_and_saveexec_b64 s[0:1], vcc
	s_cbranch_execz .LBB20_23
.LBB20_27:
	s_movk_i32 s19, 0x7f
	v_mad_u64_u32 v[17:18], s[16:17], v15, s19, v[13:14]
	v_mov_b32_e32 v22, s3
	s_waitcnt vmcnt(0)
	v_mad_u64_u32 v[20:21], s[16:17], v16, s19, v[18:19]
	v_mov_b32_e32 v18, v20
	v_lshrrev_b64 v[17:18], 7, v[17:18]
	v_lshlrev_b64 v[20:21], 2, v[17:18]
	v_add_co_u32_e32 v20, vcc, s2, v20
	v_addc_co_u32_e32 v21, vcc, v22, v21, vcc
	global_load_dword v20, v[20:21], off
	v_add_co_u32_e32 v21, vcc, 1, v17
	v_addc_co_u32_e32 v22, vcc, 0, v18, vcc
	s_waitcnt vmcnt(0)
	v_cmp_lt_i32_e32 vcc, v20, v19
	v_cndmask_b32_e32 v14, v14, v22, vcc
	v_cndmask_b32_e32 v13, v13, v21, vcc
	;; [unrolled: 1-line block ×4, first 2 shown]
	s_or_b64 exec, exec, s[0:1]
	v_cmp_lt_i64_e32 vcc, v[13:14], v[15:16]
	s_and_saveexec_b64 s[0:1], vcc
	s_cbranch_execz .LBB20_24
.LBB20_28:
	v_mad_u64_u32 v[17:18], s[16:17], v15, 31, v[13:14]
	v_mov_b32_e32 v22, s3
	s_waitcnt vmcnt(0)
	v_mad_u64_u32 v[20:21], s[16:17], v16, 31, v[18:19]
	v_mov_b32_e32 v18, v20
	v_lshrrev_b64 v[17:18], 5, v[17:18]
	v_lshlrev_b64 v[20:21], 2, v[17:18]
	v_add_co_u32_e32 v20, vcc, s2, v20
	v_addc_co_u32_e32 v21, vcc, v22, v21, vcc
	global_load_dword v20, v[20:21], off
	v_add_co_u32_e32 v21, vcc, 1, v17
	v_addc_co_u32_e32 v22, vcc, 0, v18, vcc
	s_waitcnt vmcnt(0)
	v_cmp_lt_i32_e32 vcc, v20, v19
	v_cndmask_b32_e32 v14, v14, v22, vcc
	v_cndmask_b32_e32 v13, v13, v21, vcc
	;; [unrolled: 1-line block ×4, first 2 shown]
	s_or_b64 exec, exec, s[0:1]
	v_cmp_lt_i64_e32 vcc, v[13:14], v[15:16]
	s_and_saveexec_b64 s[0:1], vcc
	s_cbranch_execz .LBB20_25
.LBB20_29:
	v_mad_u64_u32 v[17:18], s[16:17], v15, 15, v[13:14]
	v_mov_b32_e32 v22, s3
	s_waitcnt vmcnt(0)
	v_mad_u64_u32 v[20:21], s[16:17], v16, 15, v[18:19]
	v_mov_b32_e32 v18, v20
	v_lshrrev_b64 v[17:18], 4, v[17:18]
	v_lshlrev_b64 v[20:21], 2, v[17:18]
	v_add_co_u32_e32 v20, vcc, s2, v20
	v_addc_co_u32_e32 v21, vcc, v22, v21, vcc
	global_load_dword v20, v[20:21], off
	v_add_co_u32_e32 v21, vcc, 1, v17
	v_addc_co_u32_e32 v22, vcc, 0, v18, vcc
	s_waitcnt vmcnt(0)
	v_cmp_lt_i32_e32 vcc, v20, v19
	v_cndmask_b32_e32 v14, v14, v22, vcc
	v_cndmask_b32_e32 v13, v13, v21, vcc
	;; [unrolled: 1-line block ×4, first 2 shown]
	s_or_b64 exec, exec, s[0:1]
	v_cmp_lt_i64_e32 vcc, v[13:14], v[15:16]
	s_and_saveexec_b64 s[0:1], vcc
	s_cbranch_execz .LBB20_33
.LBB20_30:
	s_mov_b64 s[16:17], 0
	v_mov_b32_e32 v17, s3
.LBB20_31:                              ; =>This Inner Loop Header: Depth=1
	v_add_co_u32_e32 v20, vcc, v13, v15
	v_addc_co_u32_e32 v21, vcc, v14, v16, vcc
	v_lshrrev_b64 v[20:21], 1, v[20:21]
	v_lshlrev_b64 v[22:23], 2, v[20:21]
	v_add_co_u32_e32 v22, vcc, s2, v22
	v_addc_co_u32_e32 v23, vcc, v17, v23, vcc
	global_load_dword v18, v[22:23], off
	v_add_co_u32_e32 v22, vcc, 1, v20
	v_addc_co_u32_e32 v23, vcc, 0, v21, vcc
	s_waitcnt vmcnt(0)
	v_cmp_lt_i32_e32 vcc, v18, v19
	v_cndmask_b32_e32 v14, v14, v23, vcc
	v_cndmask_b32_e32 v13, v13, v22, vcc
	;; [unrolled: 1-line block ×4, first 2 shown]
	v_cmp_ge_i64_e32 vcc, v[13:14], v[15:16]
	s_or_b64 s[16:17], vcc, s[16:17]
	s_andn2_b64 exec, exec, s[16:17]
	s_cbranch_execnz .LBB20_31
; %bb.32:
	s_or_b64 exec, exec, s[16:17]
.LBB20_33:
	s_or_b64 exec, exec, s[0:1]
	v_sub_co_u32_e32 v1, vcc, v1, v7
	v_subb_co_u32_e32 v2, vcc, v2, v8, vcc
	v_sub_co_u32_e32 v17, vcc, v11, v13
	v_subb_co_u32_e32 v18, vcc, v12, v14, vcc
	v_add_co_u32_e32 v15, vcc, v17, v1
	v_addc_co_u32_e32 v16, vcc, v18, v2, vcc
	v_ashrrev_i64 v[1:2], 1, v[15:16]
	v_mov_b32_e32 v20, s11
	v_cmp_gt_i64_e32 vcc, v[1:2], v[17:18]
	v_cndmask_b32_e32 v1, v17, v1, vcc
	v_cndmask_b32_e32 v2, v18, v2, vcc
	v_add_co_u32_e32 v13, vcc, v13, v1
	v_addc_co_u32_e32 v14, vcc, v14, v2, vcc
	v_add_co_u32_e32 v13, vcc, 1, v13
	v_addc_co_u32_e32 v14, vcc, 0, v14, vcc
	v_cmp_gt_i64_e32 vcc, s[10:11], v[13:14]
	v_cndmask_b32_e32 v14, v20, v14, vcc
	v_mov_b32_e32 v20, s10
	v_cndmask_b32_e32 v13, v20, v13, vcc
	v_sub_co_u32_e32 v13, vcc, v13, v11
	v_subb_co_u32_e32 v14, vcc, v14, v12, vcc
	v_mov_b32_e32 v11, 0
	v_cmp_lt_i64_e32 vcc, 0, v[13:14]
	v_mov_b32_e32 v12, 0
	s_and_saveexec_b64 s[0:1], vcc
	s_cbranch_execz .LBB20_37
; %bb.34:
	v_mov_b32_e32 v11, 0
	v_mov_b32_e32 v12, 0
	s_mov_b64 s[16:17], 0
.LBB20_35:                              ; =>This Inner Loop Header: Depth=1
	v_add_co_u32_e32 v20, vcc, v11, v13
	v_addc_co_u32_e32 v21, vcc, v12, v14, vcc
	v_lshrrev_b64 v[20:21], 1, v[20:21]
	v_lshlrev_b64 v[22:23], 2, v[20:21]
	v_add_co_u32_e32 v22, vcc, v9, v22
	v_addc_co_u32_e32 v23, vcc, v10, v23, vcc
	global_load_dword v22, v[22:23], off
	v_add_co_u32_e32 v23, vcc, 1, v20
	v_addc_co_u32_e32 v24, vcc, 0, v21, vcc
	s_waitcnt vmcnt(0)
	v_cmp_lt_i32_e32 vcc, v19, v22
	v_cndmask_b32_e32 v12, v24, v12, vcc
	v_cndmask_b32_e32 v11, v23, v11, vcc
	;; [unrolled: 1-line block ×4, first 2 shown]
	v_cmp_ge_i64_e32 vcc, v[11:12], v[13:14]
	s_or_b64 s[16:17], vcc, s[16:17]
	s_andn2_b64 exec, exec, s[16:17]
	s_cbranch_execnz .LBB20_35
; %bb.36:
	s_or_b64 exec, exec, s[16:17]
	v_ashrrev_i32_e32 v12, 31, v11
.LBB20_37:
	s_or_b64 exec, exec, s[0:1]
	v_add_co_u32_e32 v9, vcc, v11, v17
	v_addc_co_u32_e32 v10, vcc, v12, v18, vcc
	v_cmp_lt_i64_e32 vcc, v[9:10], v[1:2]
	v_cmp_lt_i64_e64 s[0:1], v[1:2], v[9:10]
	v_cndmask_b32_e32 v13, v1, v9, vcc
	v_cndmask_b32_e32 v14, v2, v10, vcc
	v_sub_co_u32_e32 v11, vcc, v15, v13
	v_subb_co_u32_e32 v12, vcc, v16, v14, vcc
	v_add_co_u32_e32 v13, vcc, 1, v13
	v_addc_co_u32_e32 v14, vcc, 0, v14, vcc
	v_cmp_eq_u64_e32 vcc, v[11:12], v[13:14]
	s_and_b64 s[0:1], vcc, s[0:1]
	v_cndmask_b32_e64 v9, 0, 1, s[0:1]
	s_mov_b32 s0, 0
	v_add_co_u32_e32 v1, vcc, v11, v7
	v_mov_b32_e32 v10, s0
	v_addc_co_u32_e32 v2, vcc, v12, v8, vcc
.LBB20_38:
	s_or_b64 exec, exec, s[6:7]
	v_lshlrev_b64 v[3:4], 4, v[3:4]
	v_mov_b32_e32 v8, s13
	v_add_co_u32_e32 v7, vcc, s12, v3
	v_addc_co_u32_e32 v8, vcc, v8, v4, vcc
	v_add_co_u32_e32 v3, vcc, v9, v5
	v_addc_co_u32_e32 v4, vcc, v10, v6, vcc
	v_sub_co_u32_e32 v3, vcc, v3, v1
	v_subb_co_u32_e32 v4, vcc, v4, v2, vcc
	global_store_dwordx4 v[7:8], v[1:4], off
.LBB20_39:
	s_or_b64 exec, exec, s[4:5]
	s_cbranch_execnz .LBB20_2
.LBB20_40:
	v_add_u32_e32 v2, s18, v0
	s_movk_i32 s0, 0xfff
	v_mad_u64_u32 v[0:1], s[0:1], v2, s0, 0
	s_add_u32 s0, s10, s8
	s_addc_u32 s1, s11, s9
	v_cmp_lt_i64_e32 vcc, s[0:1], v[0:1]
	v_mov_b32_e32 v4, s1
	v_cndmask_b32_e32 v5, v1, v4, vcc
	v_mov_b32_e32 v1, s0
	v_cndmask_b32_e32 v4, v0, v1, vcc
	v_mov_b32_e32 v1, s11
	v_subrev_co_u32_e32 v0, vcc, s10, v4
	v_subb_co_u32_e32 v1, vcc, v5, v1, vcc
	v_cmp_lt_i64_e32 vcc, 0, v[0:1]
	v_mov_b32_e32 v6, s9
	v_cndmask_b32_e32 v1, 0, v1, vcc
	v_cndmask_b32_e32 v0, 0, v0, vcc
	v_cmp_lt_i64_e32 vcc, s[8:9], v[4:5]
	v_mov_b32_e32 v3, 0
	v_cndmask_b32_e32 v7, v5, v6, vcc
	v_mov_b32_e32 v6, s8
	v_cndmask_b32_e32 v6, v4, v6, vcc
	v_cmp_lt_i64_e32 vcc, v[0:1], v[6:7]
	s_mov_b64 s[4:5], 0
	s_and_saveexec_b64 s[0:1], vcc
	s_cbranch_execz .LBB20_44
; %bb.41:
	v_lshlrev_b64 v[8:9], 2, v[4:5]
	v_mov_b32_e32 v10, s3
	v_add_co_u32_e32 v8, vcc, s2, v8
	v_addc_co_u32_e32 v9, vcc, v10, v9, vcc
.LBB20_42:                              ; =>This Inner Loop Header: Depth=1
	v_add_co_u32_e32 v10, vcc, v6, v0
	v_addc_co_u32_e32 v11, vcc, v7, v1, vcc
	v_lshrrev_b64 v[10:11], 1, v[10:11]
	v_mov_b32_e32 v15, s15
	v_lshlrev_b64 v[12:13], 2, v[10:11]
	v_add_co_u32_e32 v14, vcc, s14, v12
	v_addc_co_u32_e32 v15, vcc, v15, v13, vcc
	v_xor_b32_e32 v12, -4, v12
	v_xor_b32_e32 v13, -1, v13
	v_add_co_u32_e32 v12, vcc, v8, v12
	v_addc_co_u32_e32 v13, vcc, v9, v13, vcc
	global_load_dword v14, v[14:15], off
	s_nop 0
	global_load_dword v12, v[12:13], off
	v_add_co_u32_e32 v13, vcc, 1, v10
	v_addc_co_u32_e32 v15, vcc, 0, v11, vcc
	s_waitcnt vmcnt(0)
	v_cmp_lt_i32_e32 vcc, v12, v14
	v_cndmask_b32_e32 v7, v7, v11, vcc
	v_cndmask_b32_e32 v6, v6, v10, vcc
	;; [unrolled: 1-line block ×4, first 2 shown]
	v_cmp_ge_i64_e32 vcc, v[0:1], v[6:7]
	s_or_b64 s[4:5], vcc, s[4:5]
	s_andn2_b64 exec, exec, s[4:5]
	s_cbranch_execnz .LBB20_42
; %bb.43:
	s_or_b64 exec, exec, s[4:5]
.LBB20_44:
	s_or_b64 exec, exec, s[0:1]
	v_sub_co_u32_e32 v10, vcc, v4, v0
	v_subb_co_u32_e32 v11, vcc, v5, v1, vcc
	v_cmp_gt_i64_e32 vcc, s[10:11], v[10:11]
	v_mov_b32_e32 v8, 0
	v_mov_b32_e32 v9, 0
	s_and_saveexec_b64 s[4:5], vcc
	s_cbranch_execz .LBB20_74
; %bb.45:
	v_lshlrev_b64 v[6:7], 2, v[10:11]
	v_mov_b32_e32 v9, s3
	v_add_co_u32_e32 v8, vcc, s2, v6
	v_addc_co_u32_e32 v9, vcc, v9, v7, vcc
	global_load_dword v18, v[8:9], off
	v_mov_b32_e32 v6, 0
	v_cmp_lt_i64_e32 vcc, 0, v[0:1]
	v_mov_b32_e32 v12, 0
	v_mov_b32_e32 v7, 0
	;; [unrolled: 1-line block ×3, first 2 shown]
	s_and_saveexec_b64 s[0:1], vcc
	s_cbranch_execnz .LBB20_50
; %bb.46:
	s_or_b64 exec, exec, s[0:1]
	v_cmp_lt_u64_e32 vcc, v[6:7], v[12:13]
	s_and_saveexec_b64 s[0:1], vcc
	s_cbranch_execnz .LBB20_51
.LBB20_47:
	s_or_b64 exec, exec, s[0:1]
	v_cmp_lt_u64_e32 vcc, v[6:7], v[12:13]
	s_and_saveexec_b64 s[0:1], vcc
	s_cbranch_execnz .LBB20_52
.LBB20_48:
	s_or_b64 exec, exec, s[0:1]
	v_cmp_lt_u64_e32 vcc, v[6:7], v[12:13]
	s_and_saveexec_b64 s[0:1], vcc
	s_cbranch_execnz .LBB20_53
.LBB20_49:
	s_or_b64 exec, exec, s[0:1]
	v_cmp_lt_u64_e32 vcc, v[6:7], v[12:13]
	s_and_saveexec_b64 s[0:1], vcc
	s_cbranch_execnz .LBB20_54
	s_branch .LBB20_57
.LBB20_50:
	s_movk_i32 s8, 0x1ff
	v_mad_u64_u32 v[6:7], s[6:7], v0, s8, 0
	v_mov_b32_e32 v14, s15
	v_mad_u64_u32 v[12:13], s[6:7], v1, s8, v[7:8]
	v_mov_b32_e32 v7, v12
	v_lshrrev_b64 v[12:13], 9, v[6:7]
	v_lshlrev_b64 v[6:7], 2, v[12:13]
	v_add_co_u32_e32 v6, vcc, s14, v6
	v_addc_co_u32_e32 v7, vcc, v14, v7, vcc
	global_load_dword v6, v[6:7], off
	v_add_co_u32_e32 v14, vcc, 1, v12
	v_addc_co_u32_e32 v7, vcc, 0, v13, vcc
	s_waitcnt vmcnt(0)
	v_cmp_lt_i32_e32 vcc, v6, v18
	v_cndmask_b32_e32 v7, 0, v7, vcc
	v_cndmask_b32_e32 v6, 0, v14, vcc
	;; [unrolled: 1-line block ×4, first 2 shown]
	s_or_b64 exec, exec, s[0:1]
	v_cmp_lt_u64_e32 vcc, v[6:7], v[12:13]
	s_and_saveexec_b64 s[0:1], vcc
	s_cbranch_execz .LBB20_47
.LBB20_51:
	s_movk_i32 s8, 0x7f
	v_mad_u64_u32 v[14:15], s[6:7], v12, s8, v[6:7]
	s_waitcnt vmcnt(2)
	v_mov_b32_e32 v19, s15
	v_mad_u64_u32 v[15:16], s[6:7], v13, s8, v[15:16]
	v_lshrrev_b64 v[14:15], 7, v[14:15]
	v_lshlrev_b64 v[16:17], 2, v[14:15]
	v_add_co_u32_e32 v16, vcc, s14, v16
	v_addc_co_u32_e32 v17, vcc, v19, v17, vcc
	global_load_dword v16, v[16:17], off
	v_add_co_u32_e32 v17, vcc, 1, v14
	v_addc_co_u32_e32 v19, vcc, 0, v15, vcc
	s_waitcnt vmcnt(0)
	v_cmp_lt_i32_e32 vcc, v16, v18
	v_cndmask_b32_e32 v7, v7, v19, vcc
	v_cndmask_b32_e32 v6, v6, v17, vcc
	;; [unrolled: 1-line block ×4, first 2 shown]
	s_or_b64 exec, exec, s[0:1]
	v_cmp_lt_u64_e32 vcc, v[6:7], v[12:13]
	s_and_saveexec_b64 s[0:1], vcc
	s_cbranch_execz .LBB20_48
.LBB20_52:
	v_mad_u64_u32 v[14:15], s[6:7], v12, 31, v[6:7]
	s_waitcnt vmcnt(2)
	v_mov_b32_e32 v19, s15
	v_mad_u64_u32 v[15:16], s[6:7], v13, 31, v[15:16]
	v_lshrrev_b64 v[14:15], 5, v[14:15]
	v_lshlrev_b64 v[16:17], 2, v[14:15]
	v_add_co_u32_e32 v16, vcc, s14, v16
	v_addc_co_u32_e32 v17, vcc, v19, v17, vcc
	global_load_dword v16, v[16:17], off
	v_add_co_u32_e32 v17, vcc, 1, v14
	v_addc_co_u32_e32 v19, vcc, 0, v15, vcc
	s_waitcnt vmcnt(0)
	v_cmp_lt_i32_e32 vcc, v16, v18
	v_cndmask_b32_e32 v7, v7, v19, vcc
	v_cndmask_b32_e32 v6, v6, v17, vcc
	;; [unrolled: 1-line block ×4, first 2 shown]
	s_or_b64 exec, exec, s[0:1]
	v_cmp_lt_u64_e32 vcc, v[6:7], v[12:13]
	s_and_saveexec_b64 s[0:1], vcc
	s_cbranch_execz .LBB20_49
.LBB20_53:
	v_mad_u64_u32 v[14:15], s[6:7], v12, 15, v[6:7]
	s_waitcnt vmcnt(2)
	v_mov_b32_e32 v19, s15
	v_mad_u64_u32 v[15:16], s[6:7], v13, 15, v[15:16]
	v_lshrrev_b64 v[14:15], 4, v[14:15]
	v_lshlrev_b64 v[16:17], 2, v[14:15]
	v_add_co_u32_e32 v16, vcc, s14, v16
	v_addc_co_u32_e32 v17, vcc, v19, v17, vcc
	global_load_dword v16, v[16:17], off
	v_add_co_u32_e32 v17, vcc, 1, v14
	v_addc_co_u32_e32 v19, vcc, 0, v15, vcc
	s_waitcnt vmcnt(0)
	v_cmp_lt_i32_e32 vcc, v16, v18
	v_cndmask_b32_e32 v7, v7, v19, vcc
	v_cndmask_b32_e32 v6, v6, v17, vcc
	;; [unrolled: 1-line block ×4, first 2 shown]
	s_or_b64 exec, exec, s[0:1]
	v_cmp_lt_u64_e32 vcc, v[6:7], v[12:13]
	s_and_saveexec_b64 s[0:1], vcc
	s_cbranch_execz .LBB20_57
.LBB20_54:
	s_mov_b64 s[6:7], 0
	v_mov_b32_e32 v14, s15
.LBB20_55:                              ; =>This Inner Loop Header: Depth=1
	v_add_co_u32_e32 v15, vcc, v6, v12
	v_addc_co_u32_e32 v16, vcc, v7, v13, vcc
	v_lshrrev_b64 v[15:16], 1, v[15:16]
	s_waitcnt vmcnt(2)
	v_lshlrev_b64 v[19:20], 2, v[15:16]
	v_add_co_u32_e32 v19, vcc, s14, v19
	v_addc_co_u32_e32 v20, vcc, v14, v20, vcc
	global_load_dword v17, v[19:20], off
	v_add_co_u32_e32 v19, vcc, 1, v15
	v_addc_co_u32_e32 v20, vcc, 0, v16, vcc
	s_waitcnt vmcnt(0)
	v_cmp_lt_i32_e32 vcc, v17, v18
	v_cndmask_b32_e32 v7, v7, v20, vcc
	v_cndmask_b32_e32 v6, v6, v19, vcc
	;; [unrolled: 1-line block ×4, first 2 shown]
	v_cmp_ge_i64_e32 vcc, v[6:7], v[12:13]
	s_or_b64 s[6:7], vcc, s[6:7]
	s_andn2_b64 exec, exec, s[6:7]
	s_cbranch_execnz .LBB20_55
; %bb.56:
	s_or_b64 exec, exec, s[6:7]
.LBB20_57:
	s_or_b64 exec, exec, s[0:1]
	v_mov_b32_e32 v12, 0
	v_cmp_lt_i64_e32 vcc, 0, v[10:11]
	v_mov_b32_e32 v15, v11
	v_mov_b32_e32 v13, 0
	;; [unrolled: 1-line block ×3, first 2 shown]
	s_and_saveexec_b64 s[0:1], vcc
	s_cbranch_execnz .LBB20_62
; %bb.58:
	s_or_b64 exec, exec, s[0:1]
	v_cmp_lt_i64_e32 vcc, v[12:13], v[14:15]
	s_and_saveexec_b64 s[0:1], vcc
	s_cbranch_execnz .LBB20_63
.LBB20_59:
	s_or_b64 exec, exec, s[0:1]
	v_cmp_lt_i64_e32 vcc, v[12:13], v[14:15]
	s_and_saveexec_b64 s[0:1], vcc
	s_cbranch_execnz .LBB20_64
.LBB20_60:
	s_or_b64 exec, exec, s[0:1]
	v_cmp_lt_i64_e32 vcc, v[12:13], v[14:15]
	s_and_saveexec_b64 s[0:1], vcc
	s_cbranch_execnz .LBB20_65
.LBB20_61:
	s_or_b64 exec, exec, s[0:1]
	v_cmp_lt_i64_e32 vcc, v[12:13], v[14:15]
	s_and_saveexec_b64 s[0:1], vcc
	s_cbranch_execnz .LBB20_66
	s_branch .LBB20_69
.LBB20_62:
	s_movk_i32 s8, 0x1ff
	v_mad_u64_u32 v[12:13], s[6:7], v10, s8, 0
	v_mov_b32_e32 v16, s3
	v_mad_u64_u32 v[13:14], s[6:7], v11, s8, v[13:14]
	v_lshrrev_b64 v[14:15], 9, v[12:13]
	v_lshlrev_b64 v[12:13], 2, v[14:15]
	v_add_co_u32_e32 v12, vcc, s2, v12
	v_addc_co_u32_e32 v13, vcc, v16, v13, vcc
	global_load_dword v12, v[12:13], off
	v_add_co_u32_e32 v16, vcc, 1, v14
	v_addc_co_u32_e32 v13, vcc, 0, v15, vcc
	s_waitcnt vmcnt(0)
	v_cmp_lt_i32_e32 vcc, v12, v18
	v_cndmask_b32_e32 v13, 0, v13, vcc
	v_cndmask_b32_e32 v12, 0, v16, vcc
	;; [unrolled: 1-line block ×4, first 2 shown]
	s_or_b64 exec, exec, s[0:1]
	v_cmp_lt_i64_e32 vcc, v[12:13], v[14:15]
	s_and_saveexec_b64 s[0:1], vcc
	s_cbranch_execz .LBB20_59
.LBB20_63:
	s_movk_i32 s8, 0x7f
	v_mad_u64_u32 v[16:17], s[6:7], v14, s8, v[12:13]
	v_mov_b32_e32 v21, s3
	s_waitcnt vmcnt(0)
	v_mad_u64_u32 v[19:20], s[6:7], v15, s8, v[17:18]
	v_mov_b32_e32 v17, v19
	v_lshrrev_b64 v[16:17], 7, v[16:17]
	v_lshlrev_b64 v[19:20], 2, v[16:17]
	v_add_co_u32_e32 v19, vcc, s2, v19
	v_addc_co_u32_e32 v20, vcc, v21, v20, vcc
	global_load_dword v19, v[19:20], off
	v_add_co_u32_e32 v20, vcc, 1, v16
	v_addc_co_u32_e32 v21, vcc, 0, v17, vcc
	s_waitcnt vmcnt(0)
	v_cmp_lt_i32_e32 vcc, v19, v18
	v_cndmask_b32_e32 v13, v13, v21, vcc
	v_cndmask_b32_e32 v12, v12, v20, vcc
	;; [unrolled: 1-line block ×4, first 2 shown]
	s_or_b64 exec, exec, s[0:1]
	v_cmp_lt_i64_e32 vcc, v[12:13], v[14:15]
	s_and_saveexec_b64 s[0:1], vcc
	s_cbranch_execz .LBB20_60
.LBB20_64:
	v_mad_u64_u32 v[16:17], s[6:7], v14, 31, v[12:13]
	v_mov_b32_e32 v21, s3
	s_waitcnt vmcnt(0)
	v_mad_u64_u32 v[19:20], s[6:7], v15, 31, v[17:18]
	v_mov_b32_e32 v17, v19
	v_lshrrev_b64 v[16:17], 5, v[16:17]
	v_lshlrev_b64 v[19:20], 2, v[16:17]
	v_add_co_u32_e32 v19, vcc, s2, v19
	v_addc_co_u32_e32 v20, vcc, v21, v20, vcc
	global_load_dword v19, v[19:20], off
	v_add_co_u32_e32 v20, vcc, 1, v16
	v_addc_co_u32_e32 v21, vcc, 0, v17, vcc
	s_waitcnt vmcnt(0)
	v_cmp_lt_i32_e32 vcc, v19, v18
	v_cndmask_b32_e32 v13, v13, v21, vcc
	v_cndmask_b32_e32 v12, v12, v20, vcc
	;; [unrolled: 1-line block ×4, first 2 shown]
	s_or_b64 exec, exec, s[0:1]
	v_cmp_lt_i64_e32 vcc, v[12:13], v[14:15]
	s_and_saveexec_b64 s[0:1], vcc
	s_cbranch_execz .LBB20_61
.LBB20_65:
	v_mad_u64_u32 v[16:17], s[6:7], v14, 15, v[12:13]
	v_mov_b32_e32 v21, s3
	s_waitcnt vmcnt(0)
	v_mad_u64_u32 v[19:20], s[6:7], v15, 15, v[17:18]
	v_mov_b32_e32 v17, v19
	v_lshrrev_b64 v[16:17], 4, v[16:17]
	v_lshlrev_b64 v[19:20], 2, v[16:17]
	v_add_co_u32_e32 v19, vcc, s2, v19
	v_addc_co_u32_e32 v20, vcc, v21, v20, vcc
	global_load_dword v19, v[19:20], off
	v_add_co_u32_e32 v20, vcc, 1, v16
	v_addc_co_u32_e32 v21, vcc, 0, v17, vcc
	s_waitcnt vmcnt(0)
	v_cmp_lt_i32_e32 vcc, v19, v18
	v_cndmask_b32_e32 v13, v13, v21, vcc
	v_cndmask_b32_e32 v12, v12, v20, vcc
	v_cndmask_b32_e32 v15, v17, v15, vcc
	v_cndmask_b32_e32 v14, v16, v14, vcc
	s_or_b64 exec, exec, s[0:1]
	v_cmp_lt_i64_e32 vcc, v[12:13], v[14:15]
	s_and_saveexec_b64 s[0:1], vcc
	s_cbranch_execz .LBB20_69
.LBB20_66:
	s_mov_b64 s[6:7], 0
	v_mov_b32_e32 v16, s3
.LBB20_67:                              ; =>This Inner Loop Header: Depth=1
	s_waitcnt vmcnt(2)
	v_add_co_u32_e32 v19, vcc, v12, v14
	v_addc_co_u32_e32 v20, vcc, v13, v15, vcc
	v_lshrrev_b64 v[19:20], 1, v[19:20]
	v_lshlrev_b64 v[21:22], 2, v[19:20]
	v_add_co_u32_e32 v21, vcc, s2, v21
	v_addc_co_u32_e32 v22, vcc, v16, v22, vcc
	global_load_dword v17, v[21:22], off
	v_add_co_u32_e32 v21, vcc, 1, v19
	v_addc_co_u32_e32 v22, vcc, 0, v20, vcc
	s_waitcnt vmcnt(0)
	v_cmp_lt_i32_e32 vcc, v17, v18
	v_cndmask_b32_e32 v13, v13, v22, vcc
	v_cndmask_b32_e32 v12, v12, v21, vcc
	;; [unrolled: 1-line block ×4, first 2 shown]
	v_cmp_ge_i64_e32 vcc, v[12:13], v[14:15]
	s_or_b64 s[6:7], vcc, s[6:7]
	s_andn2_b64 exec, exec, s[6:7]
	s_cbranch_execnz .LBB20_67
; %bb.68:
	s_or_b64 exec, exec, s[6:7]
.LBB20_69:
	s_or_b64 exec, exec, s[0:1]
	v_sub_co_u32_e32 v0, vcc, v0, v6
	v_subb_co_u32_e32 v1, vcc, v1, v7, vcc
	v_sub_co_u32_e32 v16, vcc, v10, v12
	v_subb_co_u32_e32 v17, vcc, v11, v13, vcc
	v_add_co_u32_e32 v14, vcc, v16, v0
	v_addc_co_u32_e32 v15, vcc, v17, v1, vcc
	v_ashrrev_i64 v[0:1], 1, v[14:15]
	s_waitcnt vmcnt(2)
	v_mov_b32_e32 v19, s11
	v_cmp_gt_i64_e32 vcc, v[0:1], v[16:17]
	v_cndmask_b32_e32 v0, v16, v0, vcc
	v_cndmask_b32_e32 v1, v17, v1, vcc
	v_add_co_u32_e32 v12, vcc, v12, v0
	v_addc_co_u32_e32 v13, vcc, v13, v1, vcc
	v_add_co_u32_e32 v12, vcc, 1, v12
	v_addc_co_u32_e32 v13, vcc, 0, v13, vcc
	v_cmp_gt_i64_e32 vcc, s[10:11], v[12:13]
	v_cndmask_b32_e32 v13, v19, v13, vcc
	v_mov_b32_e32 v19, s10
	v_cndmask_b32_e32 v12, v19, v12, vcc
	v_sub_co_u32_e32 v12, vcc, v12, v10
	v_subb_co_u32_e32 v13, vcc, v13, v11, vcc
	v_mov_b32_e32 v10, 0
	v_cmp_lt_i64_e32 vcc, 0, v[12:13]
	v_mov_b32_e32 v11, 0
	s_and_saveexec_b64 s[0:1], vcc
	s_cbranch_execz .LBB20_73
; %bb.70:
	v_mov_b32_e32 v10, 0
	v_mov_b32_e32 v11, 0
	s_mov_b64 s[2:3], 0
.LBB20_71:                              ; =>This Inner Loop Header: Depth=1
	v_add_co_u32_e32 v19, vcc, v10, v12
	v_addc_co_u32_e32 v20, vcc, v11, v13, vcc
	v_lshrrev_b64 v[19:20], 1, v[19:20]
	v_lshlrev_b64 v[21:22], 2, v[19:20]
	v_add_co_u32_e32 v21, vcc, v8, v21
	v_addc_co_u32_e32 v22, vcc, v9, v22, vcc
	global_load_dword v21, v[21:22], off
	v_add_co_u32_e32 v22, vcc, 1, v19
	v_addc_co_u32_e32 v23, vcc, 0, v20, vcc
	s_waitcnt vmcnt(0)
	v_cmp_lt_i32_e32 vcc, v18, v21
	v_cndmask_b32_e32 v11, v23, v11, vcc
	v_cndmask_b32_e32 v10, v22, v10, vcc
	;; [unrolled: 1-line block ×4, first 2 shown]
	v_cmp_ge_i64_e32 vcc, v[10:11], v[12:13]
	s_or_b64 s[2:3], vcc, s[2:3]
	s_andn2_b64 exec, exec, s[2:3]
	s_cbranch_execnz .LBB20_71
; %bb.72:
	s_or_b64 exec, exec, s[2:3]
	v_ashrrev_i32_e32 v11, 31, v10
.LBB20_73:
	s_or_b64 exec, exec, s[0:1]
	v_add_co_u32_e32 v8, vcc, v10, v16
	v_addc_co_u32_e32 v9, vcc, v11, v17, vcc
	v_cmp_lt_i64_e32 vcc, v[8:9], v[0:1]
	v_cmp_lt_i64_e64 s[0:1], v[0:1], v[8:9]
	v_cndmask_b32_e32 v12, v0, v8, vcc
	v_cndmask_b32_e32 v13, v1, v9, vcc
	v_sub_co_u32_e32 v10, vcc, v14, v12
	v_subb_co_u32_e32 v11, vcc, v15, v13, vcc
	v_add_co_u32_e32 v12, vcc, 1, v12
	v_addc_co_u32_e32 v13, vcc, 0, v13, vcc
	v_cmp_eq_u64_e32 vcc, v[10:11], v[12:13]
	s_and_b64 s[0:1], vcc, s[0:1]
	v_cndmask_b32_e64 v8, 0, 1, s[0:1]
	s_mov_b32 s0, 0
	v_add_co_u32_e32 v0, vcc, v10, v6
	v_mov_b32_e32 v9, s0
	v_addc_co_u32_e32 v1, vcc, v11, v7, vcc
.LBB20_74:
	s_or_b64 exec, exec, s[4:5]
	v_lshlrev_b64 v[2:3], 4, v[2:3]
	v_mov_b32_e32 v7, s13
	v_add_co_u32_e32 v6, vcc, s12, v2
	v_addc_co_u32_e32 v7, vcc, v7, v3, vcc
	v_add_co_u32_e32 v2, vcc, v8, v4
	v_addc_co_u32_e32 v3, vcc, v9, v5, vcc
	v_sub_co_u32_e32 v2, vcc, v2, v0
	v_subb_co_u32_e32 v3, vcc, v3, v1, vcc
	global_store_dwordx4 v[6:7], v[0:3], off
	s_endpgm
	.section	.rodata,"a",@progbits
	.p2align	6, 0x0
	.amdhsa_kernel _ZN6thrust23THRUST_200600_302600_NS11hip_rocprim14__parallel_for6kernelILj256EZNS1_16__set_operations9doit_stepILb0ENS0_6detail15normal_iteratorINS0_10device_ptrIKiEEEESB_PiSC_lNS7_INS8_IiEEEESC_NS0_4lessIiEENS4_16serial_set_unionEEE10hipError_tPvRmT0_T1_T2_T3_T4_SP_T5_T6_PSP_T7_T8_P12ihipStream_tbEUllE_jLj1EEEvSL_SM_SM_
		.amdhsa_group_segment_fixed_size 0
		.amdhsa_private_segment_fixed_size 0
		.amdhsa_kernarg_size 56
		.amdhsa_user_sgpr_count 6
		.amdhsa_user_sgpr_private_segment_buffer 1
		.amdhsa_user_sgpr_dispatch_ptr 0
		.amdhsa_user_sgpr_queue_ptr 0
		.amdhsa_user_sgpr_kernarg_segment_ptr 1
		.amdhsa_user_sgpr_dispatch_id 0
		.amdhsa_user_sgpr_flat_scratch_init 0
		.amdhsa_user_sgpr_private_segment_size 0
		.amdhsa_uses_dynamic_stack 0
		.amdhsa_system_sgpr_private_segment_wavefront_offset 0
		.amdhsa_system_sgpr_workgroup_id_x 1
		.amdhsa_system_sgpr_workgroup_id_y 0
		.amdhsa_system_sgpr_workgroup_id_z 0
		.amdhsa_system_sgpr_workgroup_info 0
		.amdhsa_system_vgpr_workitem_id 0
		.amdhsa_next_free_vgpr 25
		.amdhsa_next_free_sgpr 20
		.amdhsa_reserve_vcc 1
		.amdhsa_reserve_flat_scratch 0
		.amdhsa_float_round_mode_32 0
		.amdhsa_float_round_mode_16_64 0
		.amdhsa_float_denorm_mode_32 3
		.amdhsa_float_denorm_mode_16_64 3
		.amdhsa_dx10_clamp 1
		.amdhsa_ieee_mode 1
		.amdhsa_fp16_overflow 0
		.amdhsa_exception_fp_ieee_invalid_op 0
		.amdhsa_exception_fp_denorm_src 0
		.amdhsa_exception_fp_ieee_div_zero 0
		.amdhsa_exception_fp_ieee_overflow 0
		.amdhsa_exception_fp_ieee_underflow 0
		.amdhsa_exception_fp_ieee_inexact 0
		.amdhsa_exception_int_div_zero 0
	.end_amdhsa_kernel
	.section	.text._ZN6thrust23THRUST_200600_302600_NS11hip_rocprim14__parallel_for6kernelILj256EZNS1_16__set_operations9doit_stepILb0ENS0_6detail15normal_iteratorINS0_10device_ptrIKiEEEESB_PiSC_lNS7_INS8_IiEEEESC_NS0_4lessIiEENS4_16serial_set_unionEEE10hipError_tPvRmT0_T1_T2_T3_T4_SP_T5_T6_PSP_T7_T8_P12ihipStream_tbEUllE_jLj1EEEvSL_SM_SM_,"axG",@progbits,_ZN6thrust23THRUST_200600_302600_NS11hip_rocprim14__parallel_for6kernelILj256EZNS1_16__set_operations9doit_stepILb0ENS0_6detail15normal_iteratorINS0_10device_ptrIKiEEEESB_PiSC_lNS7_INS8_IiEEEESC_NS0_4lessIiEENS4_16serial_set_unionEEE10hipError_tPvRmT0_T1_T2_T3_T4_SP_T5_T6_PSP_T7_T8_P12ihipStream_tbEUllE_jLj1EEEvSL_SM_SM_,comdat
.Lfunc_end20:
	.size	_ZN6thrust23THRUST_200600_302600_NS11hip_rocprim14__parallel_for6kernelILj256EZNS1_16__set_operations9doit_stepILb0ENS0_6detail15normal_iteratorINS0_10device_ptrIKiEEEESB_PiSC_lNS7_INS8_IiEEEESC_NS0_4lessIiEENS4_16serial_set_unionEEE10hipError_tPvRmT0_T1_T2_T3_T4_SP_T5_T6_PSP_T7_T8_P12ihipStream_tbEUllE_jLj1EEEvSL_SM_SM_, .Lfunc_end20-_ZN6thrust23THRUST_200600_302600_NS11hip_rocprim14__parallel_for6kernelILj256EZNS1_16__set_operations9doit_stepILb0ENS0_6detail15normal_iteratorINS0_10device_ptrIKiEEEESB_PiSC_lNS7_INS8_IiEEEESC_NS0_4lessIiEENS4_16serial_set_unionEEE10hipError_tPvRmT0_T1_T2_T3_T4_SP_T5_T6_PSP_T7_T8_P12ihipStream_tbEUllE_jLj1EEEvSL_SM_SM_
                                        ; -- End function
	.set _ZN6thrust23THRUST_200600_302600_NS11hip_rocprim14__parallel_for6kernelILj256EZNS1_16__set_operations9doit_stepILb0ENS0_6detail15normal_iteratorINS0_10device_ptrIKiEEEESB_PiSC_lNS7_INS8_IiEEEESC_NS0_4lessIiEENS4_16serial_set_unionEEE10hipError_tPvRmT0_T1_T2_T3_T4_SP_T5_T6_PSP_T7_T8_P12ihipStream_tbEUllE_jLj1EEEvSL_SM_SM_.num_vgpr, 25
	.set _ZN6thrust23THRUST_200600_302600_NS11hip_rocprim14__parallel_for6kernelILj256EZNS1_16__set_operations9doit_stepILb0ENS0_6detail15normal_iteratorINS0_10device_ptrIKiEEEESB_PiSC_lNS7_INS8_IiEEEESC_NS0_4lessIiEENS4_16serial_set_unionEEE10hipError_tPvRmT0_T1_T2_T3_T4_SP_T5_T6_PSP_T7_T8_P12ihipStream_tbEUllE_jLj1EEEvSL_SM_SM_.num_agpr, 0
	.set _ZN6thrust23THRUST_200600_302600_NS11hip_rocprim14__parallel_for6kernelILj256EZNS1_16__set_operations9doit_stepILb0ENS0_6detail15normal_iteratorINS0_10device_ptrIKiEEEESB_PiSC_lNS7_INS8_IiEEEESC_NS0_4lessIiEENS4_16serial_set_unionEEE10hipError_tPvRmT0_T1_T2_T3_T4_SP_T5_T6_PSP_T7_T8_P12ihipStream_tbEUllE_jLj1EEEvSL_SM_SM_.numbered_sgpr, 20
	.set _ZN6thrust23THRUST_200600_302600_NS11hip_rocprim14__parallel_for6kernelILj256EZNS1_16__set_operations9doit_stepILb0ENS0_6detail15normal_iteratorINS0_10device_ptrIKiEEEESB_PiSC_lNS7_INS8_IiEEEESC_NS0_4lessIiEENS4_16serial_set_unionEEE10hipError_tPvRmT0_T1_T2_T3_T4_SP_T5_T6_PSP_T7_T8_P12ihipStream_tbEUllE_jLj1EEEvSL_SM_SM_.num_named_barrier, 0
	.set _ZN6thrust23THRUST_200600_302600_NS11hip_rocprim14__parallel_for6kernelILj256EZNS1_16__set_operations9doit_stepILb0ENS0_6detail15normal_iteratorINS0_10device_ptrIKiEEEESB_PiSC_lNS7_INS8_IiEEEESC_NS0_4lessIiEENS4_16serial_set_unionEEE10hipError_tPvRmT0_T1_T2_T3_T4_SP_T5_T6_PSP_T7_T8_P12ihipStream_tbEUllE_jLj1EEEvSL_SM_SM_.private_seg_size, 0
	.set _ZN6thrust23THRUST_200600_302600_NS11hip_rocprim14__parallel_for6kernelILj256EZNS1_16__set_operations9doit_stepILb0ENS0_6detail15normal_iteratorINS0_10device_ptrIKiEEEESB_PiSC_lNS7_INS8_IiEEEESC_NS0_4lessIiEENS4_16serial_set_unionEEE10hipError_tPvRmT0_T1_T2_T3_T4_SP_T5_T6_PSP_T7_T8_P12ihipStream_tbEUllE_jLj1EEEvSL_SM_SM_.uses_vcc, 1
	.set _ZN6thrust23THRUST_200600_302600_NS11hip_rocprim14__parallel_for6kernelILj256EZNS1_16__set_operations9doit_stepILb0ENS0_6detail15normal_iteratorINS0_10device_ptrIKiEEEESB_PiSC_lNS7_INS8_IiEEEESC_NS0_4lessIiEENS4_16serial_set_unionEEE10hipError_tPvRmT0_T1_T2_T3_T4_SP_T5_T6_PSP_T7_T8_P12ihipStream_tbEUllE_jLj1EEEvSL_SM_SM_.uses_flat_scratch, 0
	.set _ZN6thrust23THRUST_200600_302600_NS11hip_rocprim14__parallel_for6kernelILj256EZNS1_16__set_operations9doit_stepILb0ENS0_6detail15normal_iteratorINS0_10device_ptrIKiEEEESB_PiSC_lNS7_INS8_IiEEEESC_NS0_4lessIiEENS4_16serial_set_unionEEE10hipError_tPvRmT0_T1_T2_T3_T4_SP_T5_T6_PSP_T7_T8_P12ihipStream_tbEUllE_jLj1EEEvSL_SM_SM_.has_dyn_sized_stack, 0
	.set _ZN6thrust23THRUST_200600_302600_NS11hip_rocprim14__parallel_for6kernelILj256EZNS1_16__set_operations9doit_stepILb0ENS0_6detail15normal_iteratorINS0_10device_ptrIKiEEEESB_PiSC_lNS7_INS8_IiEEEESC_NS0_4lessIiEENS4_16serial_set_unionEEE10hipError_tPvRmT0_T1_T2_T3_T4_SP_T5_T6_PSP_T7_T8_P12ihipStream_tbEUllE_jLj1EEEvSL_SM_SM_.has_recursion, 0
	.set _ZN6thrust23THRUST_200600_302600_NS11hip_rocprim14__parallel_for6kernelILj256EZNS1_16__set_operations9doit_stepILb0ENS0_6detail15normal_iteratorINS0_10device_ptrIKiEEEESB_PiSC_lNS7_INS8_IiEEEESC_NS0_4lessIiEENS4_16serial_set_unionEEE10hipError_tPvRmT0_T1_T2_T3_T4_SP_T5_T6_PSP_T7_T8_P12ihipStream_tbEUllE_jLj1EEEvSL_SM_SM_.has_indirect_call, 0
	.section	.AMDGPU.csdata,"",@progbits
; Kernel info:
; codeLenInByte = 3912
; TotalNumSgprs: 24
; NumVgprs: 25
; ScratchSize: 0
; MemoryBound: 0
; FloatMode: 240
; IeeeMode: 1
; LDSByteSize: 0 bytes/workgroup (compile time only)
; SGPRBlocks: 2
; VGPRBlocks: 6
; NumSGPRsForWavesPerEU: 24
; NumVGPRsForWavesPerEU: 25
; Occupancy: 9
; WaveLimiterHint : 0
; COMPUTE_PGM_RSRC2:SCRATCH_EN: 0
; COMPUTE_PGM_RSRC2:USER_SGPR: 6
; COMPUTE_PGM_RSRC2:TRAP_HANDLER: 0
; COMPUTE_PGM_RSRC2:TGID_X_EN: 1
; COMPUTE_PGM_RSRC2:TGID_Y_EN: 0
; COMPUTE_PGM_RSRC2:TGID_Z_EN: 0
; COMPUTE_PGM_RSRC2:TIDIG_COMP_CNT: 0
	.section	.text._ZN6thrust23THRUST_200600_302600_NS11hip_rocprim16__set_operations22lookback_set_op_kernelIN7rocprim17ROCPRIM_400000_NS13kernel_configILj256ELj16ELj4294967295EEELb0ENS0_6detail15normal_iteratorINS0_10device_ptrIKiEEEESD_PiSE_lNS9_INSA_IiEEEESE_NS0_4lessIiEENS2_16serial_set_unionENS5_6detail19lookback_scan_stateIlLb0ELb1EEEEEvT1_T2_T3_T4_T6_T7_T8_T9_PNS0_4pairIT5_SW_EEPSW_T10_NSK_16ordered_block_idIjEE,"axG",@progbits,_ZN6thrust23THRUST_200600_302600_NS11hip_rocprim16__set_operations22lookback_set_op_kernelIN7rocprim17ROCPRIM_400000_NS13kernel_configILj256ELj16ELj4294967295EEELb0ENS0_6detail15normal_iteratorINS0_10device_ptrIKiEEEESD_PiSE_lNS9_INSA_IiEEEESE_NS0_4lessIiEENS2_16serial_set_unionENS5_6detail19lookback_scan_stateIlLb0ELb1EEEEEvT1_T2_T3_T4_T6_T7_T8_T9_PNS0_4pairIT5_SW_EEPSW_T10_NSK_16ordered_block_idIjEE,comdat
	.protected	_ZN6thrust23THRUST_200600_302600_NS11hip_rocprim16__set_operations22lookback_set_op_kernelIN7rocprim17ROCPRIM_400000_NS13kernel_configILj256ELj16ELj4294967295EEELb0ENS0_6detail15normal_iteratorINS0_10device_ptrIKiEEEESD_PiSE_lNS9_INSA_IiEEEESE_NS0_4lessIiEENS2_16serial_set_unionENS5_6detail19lookback_scan_stateIlLb0ELb1EEEEEvT1_T2_T3_T4_T6_T7_T8_T9_PNS0_4pairIT5_SW_EEPSW_T10_NSK_16ordered_block_idIjEE ; -- Begin function _ZN6thrust23THRUST_200600_302600_NS11hip_rocprim16__set_operations22lookback_set_op_kernelIN7rocprim17ROCPRIM_400000_NS13kernel_configILj256ELj16ELj4294967295EEELb0ENS0_6detail15normal_iteratorINS0_10device_ptrIKiEEEESD_PiSE_lNS9_INSA_IiEEEESE_NS0_4lessIiEENS2_16serial_set_unionENS5_6detail19lookback_scan_stateIlLb0ELb1EEEEEvT1_T2_T3_T4_T6_T7_T8_T9_PNS0_4pairIT5_SW_EEPSW_T10_NSK_16ordered_block_idIjEE
	.globl	_ZN6thrust23THRUST_200600_302600_NS11hip_rocprim16__set_operations22lookback_set_op_kernelIN7rocprim17ROCPRIM_400000_NS13kernel_configILj256ELj16ELj4294967295EEELb0ENS0_6detail15normal_iteratorINS0_10device_ptrIKiEEEESD_PiSE_lNS9_INSA_IiEEEESE_NS0_4lessIiEENS2_16serial_set_unionENS5_6detail19lookback_scan_stateIlLb0ELb1EEEEEvT1_T2_T3_T4_T6_T7_T8_T9_PNS0_4pairIT5_SW_EEPSW_T10_NSK_16ordered_block_idIjEE
	.p2align	8
	.type	_ZN6thrust23THRUST_200600_302600_NS11hip_rocprim16__set_operations22lookback_set_op_kernelIN7rocprim17ROCPRIM_400000_NS13kernel_configILj256ELj16ELj4294967295EEELb0ENS0_6detail15normal_iteratorINS0_10device_ptrIKiEEEESD_PiSE_lNS9_INSA_IiEEEESE_NS0_4lessIiEENS2_16serial_set_unionENS5_6detail19lookback_scan_stateIlLb0ELb1EEEEEvT1_T2_T3_T4_T6_T7_T8_T9_PNS0_4pairIT5_SW_EEPSW_T10_NSK_16ordered_block_idIjEE,@function
_ZN6thrust23THRUST_200600_302600_NS11hip_rocprim16__set_operations22lookback_set_op_kernelIN7rocprim17ROCPRIM_400000_NS13kernel_configILj256ELj16ELj4294967295EEELb0ENS0_6detail15normal_iteratorINS0_10device_ptrIKiEEEESD_PiSE_lNS9_INSA_IiEEEESE_NS0_4lessIiEENS2_16serial_set_unionENS5_6detail19lookback_scan_stateIlLb0ELb1EEEEEvT1_T2_T3_T4_T6_T7_T8_T9_PNS0_4pairIT5_SW_EEPSW_T10_NSK_16ordered_block_idIjEE: ; @_ZN6thrust23THRUST_200600_302600_NS11hip_rocprim16__set_operations22lookback_set_op_kernelIN7rocprim17ROCPRIM_400000_NS13kernel_configILj256ELj16ELj4294967295EEELb0ENS0_6detail15normal_iteratorINS0_10device_ptrIKiEEEESD_PiSE_lNS9_INSA_IiEEEESE_NS0_4lessIiEENS2_16serial_set_unionENS5_6detail19lookback_scan_stateIlLb0ELb1EEEEEvT1_T2_T3_T4_T6_T7_T8_T9_PNS0_4pairIT5_SW_EEPSW_T10_NSK_16ordered_block_idIjEE
; %bb.0:
	s_load_dword s0, s[4:5], 0x64
	s_load_dword s8, s[4:5], 0x58
	s_load_dwordx8 s[48:55], s[4:5], 0x38
	s_waitcnt lgkmcnt(0)
	s_lshr_b32 s1, s0, 16
	s_and_b32 s0, s0, 0xffff
	v_mad_u32_u24 v1, v2, s1, v1
	v_mul_lo_u32 v1, v1, s0
	v_sub_u32_e32 v2, 0, v0
	v_cmp_eq_u32_e32 vcc, v1, v2
	s_and_saveexec_b64 s[0:1], vcc
	s_cbranch_execz .LBB21_4
; %bb.1:
	s_mov_b64 s[6:7], exec
	v_mbcnt_lo_u32_b32 v1, s6, 0
	v_mbcnt_hi_u32_b32 v1, s7, v1
	v_cmp_eq_u32_e32 vcc, 0, v1
                                        ; implicit-def: $vgpr2
	s_and_saveexec_b64 s[2:3], vcc
	s_cbranch_execz .LBB21_3
; %bb.2:
	s_bcnt1_i32_b64 s6, s[6:7]
	v_mov_b32_e32 v2, 0
	v_mov_b32_e32 v3, s6
	global_atomic_add v2, v2, v3, s[54:55] glc
.LBB21_3:
	s_or_b64 exec, exec, s[2:3]
	s_waitcnt vmcnt(0)
	v_readfirstlane_b32 s2, v2
	v_add_u32_e32 v1, s2, v1
	v_mov_b32_e32 v2, 0
	ds_write_b32 v2, v1 offset:36864
.LBB21_4:
	s_or_b64 exec, exec, s[0:1]
	v_mov_b32_e32 v1, 0
	s_waitcnt lgkmcnt(0)
	s_barrier
	ds_read_b32 v9, v1 offset:36864
	s_add_i32 s8, s8, -1
	s_waitcnt lgkmcnt(0)
	v_readfirstlane_b32 s56, v9
	s_ashr_i32 s57, s56, 31
	s_lshl_b64 s[0:1], s[56:57], 4
	s_add_u32 s0, s48, s0
	s_addc_u32 s1, s49, s1
	global_load_dwordx4 v[2:5], v1, s[0:1] offset:16
	global_load_dwordx4 v[5:8], v1, s[0:1]
                                        ; kill: killed $sgpr0 killed $sgpr1
	s_load_dwordx4 s[0:3], s[4:5], 0x0
	s_load_dwordx2 s[54:55], s[4:5], 0x20
	v_cmp_le_i32_e32 vcc, s8, v9
	s_and_b64 vcc, exec, vcc
	s_waitcnt lgkmcnt(0)
	v_mov_b32_e32 v10, s1
	v_mov_b32_e32 v11, s3
	s_waitcnt vmcnt(0)
	v_sub_u32_e32 v18, v2, v5
	v_lshlrev_b64 v[2:3], 2, v[5:6]
	v_sub_u32_e32 v19, v4, v7
	v_lshlrev_b64 v[4:5], 2, v[7:8]
	v_add_co_u32_e64 v22, s[0:1], s0, v2
	v_addc_co_u32_e64 v23, s[0:1], v10, v3, s[0:1]
	v_add_co_u32_e64 v20, s[0:1], s2, v4
	v_addc_co_u32_e64 v21, s[0:1], v11, v5, s[0:1]
	s_mov_b64 s[0:1], -1
	s_cbranch_vccz .LBB21_243
; %bb.5:
	v_add_u32_e32 v3, v19, v18
	v_cmp_lt_i32_e32 vcc, v0, v3
	v_mov_b32_e32 v2, v1
	v_mov_b32_e32 v4, v1
	;; [unrolled: 1-line block ×15, first 2 shown]
	s_and_saveexec_b64 s[0:1], vcc
	s_cbranch_execz .LBB21_7
; %bb.6:
	v_lshlrev_b32_e32 v1, 2, v0
	v_mov_b32_e32 v2, 0
	v_add_co_u32_e32 v6, vcc, v22, v1
	v_sub_u32_e32 v1, v0, v18
	v_lshlrev_b64 v[4:5], 2, v[1:2]
	v_addc_co_u32_e32 v7, vcc, 0, v23, vcc
	v_add_co_u32_e32 v1, vcc, v20, v4
	v_addc_co_u32_e32 v4, vcc, v21, v5, vcc
	v_cmp_lt_i32_e32 vcc, v0, v18
	v_cndmask_b32_e32 v5, v4, v7, vcc
	v_cndmask_b32_e32 v4, v1, v6, vcc
	global_load_dword v1, v[4:5], off
	v_mov_b32_e32 v4, v2
	v_mov_b32_e32 v6, v2
	;; [unrolled: 1-line block ×14, first 2 shown]
.LBB21_7:
	s_or_b64 exec, exec, s[0:1]
	v_or_b32_e32 v24, 0x100, v0
	v_cmp_lt_i32_e32 vcc, v24, v3
	s_and_saveexec_b64 s[0:1], vcc
	s_cbranch_execz .LBB21_9
; %bb.8:
	v_lshlrev_b32_e32 v2, 2, v0
	v_add_co_u32_e32 v2, vcc, v22, v2
	v_addc_co_u32_e32 v25, vcc, 0, v23, vcc
	v_add_co_u32_e32 v2, vcc, 0x400, v2
	v_mov_b32_e32 v26, 0
	v_addc_co_u32_e32 v27, vcc, 0, v25, vcc
	v_sub_u32_e32 v25, v24, v18
	v_lshlrev_b64 v[25:26], 2, v[25:26]
	v_add_co_u32_e32 v28, vcc, v20, v25
	v_addc_co_u32_e32 v25, vcc, v21, v26, vcc
	v_cmp_lt_i32_e32 vcc, v24, v18
	v_cndmask_b32_e32 v25, v25, v27, vcc
	v_cndmask_b32_e32 v24, v28, v2, vcc
	global_load_dword v2, v[24:25], off
.LBB21_9:
	s_or_b64 exec, exec, s[0:1]
	v_or_b32_e32 v24, 0x200, v0
	v_cmp_lt_i32_e32 vcc, v24, v3
	s_and_saveexec_b64 s[0:1], vcc
	s_cbranch_execz .LBB21_11
; %bb.10:
	v_lshlrev_b32_e32 v4, 2, v0
	v_add_co_u32_e32 v4, vcc, v22, v4
	v_addc_co_u32_e32 v25, vcc, 0, v23, vcc
	v_add_co_u32_e32 v4, vcc, 0x800, v4
	v_mov_b32_e32 v26, 0
	v_addc_co_u32_e32 v27, vcc, 0, v25, vcc
	v_sub_u32_e32 v25, v24, v18
	v_lshlrev_b64 v[25:26], 2, v[25:26]
	v_add_co_u32_e32 v28, vcc, v20, v25
	v_addc_co_u32_e32 v25, vcc, v21, v26, vcc
	v_cmp_lt_i32_e32 vcc, v24, v18
	v_cndmask_b32_e32 v25, v25, v27, vcc
	v_cndmask_b32_e32 v24, v28, v4, vcc
	global_load_dword v4, v[24:25], off
.LBB21_11:
	;; [unrolled: 21-line block ×3, first 2 shown]
	s_or_b64 exec, exec, s[0:1]
	v_or_b32_e32 v24, 0x400, v0
	v_cmp_lt_i32_e32 vcc, v24, v3
	s_and_saveexec_b64 s[0:1], vcc
	s_cbranch_execz .LBB21_15
; %bb.14:
	v_lshlrev_b32_e32 v5, 2, v24
	v_mov_b32_e32 v26, 0
	v_sub_u32_e32 v25, v24, v18
	v_add_co_u32_e32 v5, vcc, v22, v5
	v_lshlrev_b64 v[25:26], 2, v[25:26]
	v_addc_co_u32_e32 v27, vcc, 0, v23, vcc
	v_add_co_u32_e32 v28, vcc, v20, v25
	v_addc_co_u32_e32 v25, vcc, v21, v26, vcc
	v_cmp_lt_i32_e32 vcc, v24, v18
	v_cndmask_b32_e32 v25, v25, v27, vcc
	v_cndmask_b32_e32 v24, v28, v5, vcc
	global_load_dword v5, v[24:25], off
.LBB21_15:
	s_or_b64 exec, exec, s[0:1]
	v_or_b32_e32 v24, 0x500, v0
	v_cmp_lt_i32_e32 vcc, v24, v3
	s_and_saveexec_b64 s[0:1], vcc
	s_cbranch_execz .LBB21_17
; %bb.16:
	v_lshlrev_b32_e32 v7, 2, v24
	v_mov_b32_e32 v26, 0
	v_sub_u32_e32 v25, v24, v18
	v_add_co_u32_e32 v7, vcc, v22, v7
	v_lshlrev_b64 v[25:26], 2, v[25:26]
	v_addc_co_u32_e32 v27, vcc, 0, v23, vcc
	v_add_co_u32_e32 v28, vcc, v20, v25
	v_addc_co_u32_e32 v25, vcc, v21, v26, vcc
	v_cmp_lt_i32_e32 vcc, v24, v18
	v_cndmask_b32_e32 v25, v25, v27, vcc
	v_cndmask_b32_e32 v24, v28, v7, vcc
	global_load_dword v7, v[24:25], off
.LBB21_17:
	;; [unrolled: 19-line block ×12, first 2 shown]
	s_or_b64 exec, exec, s[0:1]
	v_lshlrev_b32_e32 v24, 2, v0
	s_waitcnt vmcnt(0)
	ds_write2st64_b32 v24, v1, v2 offset0:76 offset1:80
	ds_write2st64_b32 v24, v4, v6 offset0:84 offset1:88
	;; [unrolled: 1-line block ×8, first 2 shown]
	v_lshlrev_b32_e32 v1, 4, v0
	v_min_i32_e32 v2, v3, v1
	v_lshlrev_b32_e32 v1, 2, v18
	v_add_u32_e32 v3, 0x4800, v1
	v_sub_u32_e32 v1, v2, v19
	v_max_i32_e32 v1, 0, v1
	v_min_i32_e32 v4, v18, v2
	v_cmp_lt_i32_e32 vcc, v1, v4
	s_waitcnt lgkmcnt(0)
	s_barrier
	s_and_saveexec_b64 s[0:1], vcc
	s_cbranch_execz .LBB21_41
; %bb.38:
	v_lshl_add_u32 v5, v2, 2, v3
	v_add_u32_e32 v5, 0x400, v5
	s_mov_b64 s[2:3], 0
.LBB21_39:                              ; =>This Inner Loop Header: Depth=1
	v_add_u32_e32 v6, v4, v1
	v_lshrrev_b32_e32 v6, 1, v6
	v_not_b32_e32 v8, v6
	v_lshlrev_b32_e32 v7, 2, v6
	v_lshl_add_u32 v8, v8, 2, v5
	ds_read_b32 v7, v7 offset:19456
	ds_read_b32 v8, v8
	v_add_u32_e32 v9, 1, v6
	s_waitcnt lgkmcnt(0)
	v_cmp_lt_i32_e32 vcc, v8, v7
	v_cndmask_b32_e32 v4, v4, v6, vcc
	v_cndmask_b32_e32 v1, v9, v1, vcc
	v_cmp_ge_i32_e32 vcc, v1, v4
	s_or_b64 s[2:3], vcc, s[2:3]
	s_andn2_b64 exec, exec, s[2:3]
	s_cbranch_execnz .LBB21_39
; %bb.40:
	s_or_b64 exec, exec, s[2:3]
.LBB21_41:
	s_or_b64 exec, exec, s[0:1]
	v_sub_u32_e32 v8, v2, v1
	v_or_b32_e32 v4, 0x4800, v24
	v_cmp_lt_i32_e32 vcc, v8, v19
	v_mov_b32_e32 v6, 0
	s_and_saveexec_b64 s[2:3], vcc
	s_cbranch_execz .LBB21_71
; %bb.42:
	v_lshl_add_u32 v6, v8, 2, v3
	ds_read_b32 v7, v6 offset:1024
	v_mov_b32_e32 v5, 0
	v_cmp_lt_i32_e32 vcc, 0, v1
	v_mov_b32_e32 v9, 0
	s_and_saveexec_b64 s[0:1], vcc
	s_cbranch_execnz .LBB21_47
; %bb.43:
	s_or_b64 exec, exec, s[0:1]
	v_cmp_lt_i32_e32 vcc, v5, v9
	s_and_saveexec_b64 s[0:1], vcc
	s_cbranch_execnz .LBB21_48
.LBB21_44:
	s_or_b64 exec, exec, s[0:1]
	v_cmp_lt_i32_e32 vcc, v5, v9
	s_and_saveexec_b64 s[0:1], vcc
	s_cbranch_execnz .LBB21_49
.LBB21_45:
	s_or_b64 exec, exec, s[0:1]
	v_cmp_lt_i32_e32 vcc, v5, v9
	s_and_saveexec_b64 s[0:1], vcc
	s_cbranch_execnz .LBB21_50
.LBB21_46:
	s_or_b64 exec, exec, s[0:1]
	v_cmp_lt_i32_e32 vcc, v5, v9
	s_and_saveexec_b64 s[0:1], vcc
	s_cbranch_execnz .LBB21_51
	s_branch .LBB21_54
.LBB21_47:
	s_movk_i32 s4, 0x1ff
	v_mul_lo_u32 v5, v1, s4
	v_ashrrev_i32_e32 v9, 9, v5
	v_lshlrev_b32_e32 v5, 2, v9
	ds_read_b32 v5, v5 offset:19456
	v_add_u32_e32 v10, 1, v9
	s_waitcnt lgkmcnt(0)
	v_cmp_lt_i32_e32 vcc, v5, v7
	v_cndmask_b32_e32 v5, 0, v10, vcc
	v_cndmask_b32_e32 v9, v9, v1, vcc
	s_or_b64 exec, exec, s[0:1]
	v_cmp_lt_i32_e32 vcc, v5, v9
	s_and_saveexec_b64 s[0:1], vcc
	s_cbranch_execz .LBB21_44
.LBB21_48:
	v_sub_u32_e32 v10, v5, v9
	v_lshl_add_u32 v10, v9, 7, v10
	v_ashrrev_i32_e32 v10, 7, v10
	v_lshlrev_b32_e32 v11, 2, v10
	ds_read_b32 v11, v11 offset:19456
	v_add_u32_e32 v12, 1, v10
	s_waitcnt lgkmcnt(0)
	v_cmp_lt_i32_e32 vcc, v11, v7
	v_cndmask_b32_e32 v5, v5, v12, vcc
	v_cndmask_b32_e32 v9, v10, v9, vcc
	s_or_b64 exec, exec, s[0:1]
	v_cmp_lt_i32_e32 vcc, v5, v9
	s_and_saveexec_b64 s[0:1], vcc
	s_cbranch_execz .LBB21_45
.LBB21_49:
	v_sub_u32_e32 v10, v5, v9
	v_lshl_add_u32 v10, v9, 5, v10
	v_ashrrev_i32_e32 v10, 5, v10
	v_lshlrev_b32_e32 v11, 2, v10
	ds_read_b32 v11, v11 offset:19456
	v_add_u32_e32 v12, 1, v10
	s_waitcnt lgkmcnt(0)
	v_cmp_lt_i32_e32 vcc, v11, v7
	v_cndmask_b32_e32 v5, v5, v12, vcc
	v_cndmask_b32_e32 v9, v10, v9, vcc
	s_or_b64 exec, exec, s[0:1]
	v_cmp_lt_i32_e32 vcc, v5, v9
	s_and_saveexec_b64 s[0:1], vcc
	s_cbranch_execz .LBB21_46
.LBB21_50:
	v_sub_u32_e32 v10, v5, v9
	v_lshl_add_u32 v10, v9, 4, v10
	v_ashrrev_i32_e32 v10, 4, v10
	v_lshlrev_b32_e32 v11, 2, v10
	ds_read_b32 v11, v11 offset:19456
	v_add_u32_e32 v12, 1, v10
	s_waitcnt lgkmcnt(0)
	v_cmp_lt_i32_e32 vcc, v11, v7
	v_cndmask_b32_e32 v5, v5, v12, vcc
	v_cndmask_b32_e32 v9, v10, v9, vcc
	s_or_b64 exec, exec, s[0:1]
	v_cmp_lt_i32_e32 vcc, v5, v9
	s_and_saveexec_b64 s[0:1], vcc
	s_cbranch_execz .LBB21_54
.LBB21_51:
	s_mov_b64 s[4:5], 0
.LBB21_52:                              ; =>This Inner Loop Header: Depth=1
	v_sub_u32_e32 v10, v5, v9
	v_lshl_add_u32 v10, v9, 1, v10
	v_ashrrev_i32_e32 v10, 1, v10
	v_lshlrev_b32_e32 v11, 2, v10
	ds_read_b32 v11, v11 offset:19456
	v_add_u32_e32 v12, 1, v10
	s_waitcnt lgkmcnt(0)
	v_cmp_lt_i32_e32 vcc, v11, v7
	v_cndmask_b32_e32 v5, v5, v12, vcc
	v_cndmask_b32_e32 v9, v10, v9, vcc
	v_cmp_ge_i32_e32 vcc, v5, v9
	s_or_b64 s[4:5], vcc, s[4:5]
	s_andn2_b64 exec, exec, s[4:5]
	s_cbranch_execnz .LBB21_52
; %bb.53:
	s_or_b64 exec, exec, s[4:5]
.LBB21_54:
	s_or_b64 exec, exec, s[0:1]
	v_mov_b32_e32 v9, 0
	v_cmp_lt_i32_e32 vcc, 0, v8
	v_mov_b32_e32 v10, v8
	s_and_saveexec_b64 s[0:1], vcc
	s_cbranch_execnz .LBB21_59
; %bb.55:
	s_or_b64 exec, exec, s[0:1]
	v_cmp_lt_i32_e32 vcc, v9, v10
	s_and_saveexec_b64 s[0:1], vcc
	s_cbranch_execnz .LBB21_60
.LBB21_56:
	s_or_b64 exec, exec, s[0:1]
	v_cmp_lt_i32_e32 vcc, v9, v10
	s_and_saveexec_b64 s[0:1], vcc
	s_cbranch_execnz .LBB21_61
.LBB21_57:
	s_or_b64 exec, exec, s[0:1]
	v_cmp_lt_i32_e32 vcc, v9, v10
	s_and_saveexec_b64 s[0:1], vcc
	s_cbranch_execnz .LBB21_62
.LBB21_58:
	s_or_b64 exec, exec, s[0:1]
	v_cmp_lt_i32_e32 vcc, v9, v10
	s_and_saveexec_b64 s[0:1], vcc
	s_cbranch_execnz .LBB21_63
	s_branch .LBB21_66
.LBB21_59:
	s_movk_i32 s4, 0x1ff
	v_mul_lo_u32 v9, v8, s4
	v_lshrrev_b32_e32 v10, 9, v9
	v_lshl_add_u32 v9, v10, 2, v3
	ds_read_b32 v9, v9 offset:1024
	v_add_u32_e32 v11, 1, v10
	s_waitcnt lgkmcnt(0)
	v_cmp_lt_i32_e32 vcc, v9, v7
	v_cndmask_b32_e32 v9, 0, v11, vcc
	v_cndmask_b32_e32 v10, v10, v8, vcc
	s_or_b64 exec, exec, s[0:1]
	v_cmp_lt_i32_e32 vcc, v9, v10
	s_and_saveexec_b64 s[0:1], vcc
	s_cbranch_execz .LBB21_56
.LBB21_60:
	v_sub_u32_e32 v11, v9, v10
	v_lshl_add_u32 v11, v10, 7, v11
	v_ashrrev_i32_e32 v11, 7, v11
	v_lshl_add_u32 v12, v11, 2, v3
	ds_read_b32 v12, v12 offset:1024
	v_add_u32_e32 v13, 1, v11
	s_waitcnt lgkmcnt(0)
	v_cmp_lt_i32_e32 vcc, v12, v7
	v_cndmask_b32_e32 v9, v9, v13, vcc
	v_cndmask_b32_e32 v10, v11, v10, vcc
	s_or_b64 exec, exec, s[0:1]
	v_cmp_lt_i32_e32 vcc, v9, v10
	s_and_saveexec_b64 s[0:1], vcc
	s_cbranch_execz .LBB21_57
.LBB21_61:
	v_sub_u32_e32 v11, v9, v10
	v_lshl_add_u32 v11, v10, 5, v11
	v_ashrrev_i32_e32 v11, 5, v11
	v_lshl_add_u32 v12, v11, 2, v3
	ds_read_b32 v12, v12 offset:1024
	v_add_u32_e32 v13, 1, v11
	s_waitcnt lgkmcnt(0)
	v_cmp_lt_i32_e32 vcc, v12, v7
	v_cndmask_b32_e32 v9, v9, v13, vcc
	v_cndmask_b32_e32 v10, v11, v10, vcc
	s_or_b64 exec, exec, s[0:1]
	v_cmp_lt_i32_e32 vcc, v9, v10
	s_and_saveexec_b64 s[0:1], vcc
	s_cbranch_execz .LBB21_58
.LBB21_62:
	v_sub_u32_e32 v11, v9, v10
	v_lshl_add_u32 v11, v10, 4, v11
	v_ashrrev_i32_e32 v11, 4, v11
	v_lshl_add_u32 v12, v11, 2, v3
	ds_read_b32 v12, v12 offset:1024
	v_add_u32_e32 v13, 1, v11
	s_waitcnt lgkmcnt(0)
	v_cmp_lt_i32_e32 vcc, v12, v7
	v_cndmask_b32_e32 v9, v9, v13, vcc
	v_cndmask_b32_e32 v10, v11, v10, vcc
	s_or_b64 exec, exec, s[0:1]
	v_cmp_lt_i32_e32 vcc, v9, v10
	s_and_saveexec_b64 s[0:1], vcc
	s_cbranch_execz .LBB21_66
.LBB21_63:
	s_mov_b64 s[4:5], 0
.LBB21_64:                              ; =>This Inner Loop Header: Depth=1
	v_sub_u32_e32 v11, v9, v10
	v_lshl_add_u32 v11, v10, 1, v11
	v_ashrrev_i32_e32 v11, 1, v11
	v_lshl_add_u32 v12, v11, 2, v3
	ds_read_b32 v12, v12 offset:1024
	v_add_u32_e32 v13, 1, v11
	s_waitcnt lgkmcnt(0)
	v_cmp_lt_i32_e32 vcc, v12, v7
	v_cndmask_b32_e32 v9, v9, v13, vcc
	v_cndmask_b32_e32 v10, v11, v10, vcc
	v_cmp_ge_i32_e32 vcc, v9, v10
	s_or_b64 s[4:5], vcc, s[4:5]
	s_andn2_b64 exec, exec, s[4:5]
	s_cbranch_execnz .LBB21_64
; %bb.65:
	s_or_b64 exec, exec, s[4:5]
.LBB21_66:
	s_or_b64 exec, exec, s[0:1]
	v_sub_u32_e32 v1, v1, v5
	v_sub_u32_e32 v10, v8, v9
	v_add_u32_e32 v3, v10, v1
	v_ashrrev_i32_e32 v1, 1, v3
	v_max_i32_e32 v1, v1, v10
	v_add3_u32 v9, v9, v1, 1
	v_min_i32_e32 v9, v9, v19
	v_sub_u32_e32 v9, v9, v8
	v_mov_b32_e32 v8, 0
	v_cmp_lt_i32_e32 vcc, 0, v9
	s_and_saveexec_b64 s[0:1], vcc
	s_cbranch_execz .LBB21_70
; %bb.67:
	v_mov_b32_e32 v8, 0
	s_mov_b64 s[4:5], 0
.LBB21_68:                              ; =>This Inner Loop Header: Depth=1
	v_add_u32_e32 v11, v8, v9
	v_lshrrev_b32_e32 v11, 1, v11
	v_lshl_add_u32 v12, v11, 2, v6
	ds_read_b32 v12, v12 offset:1024
	v_add_u32_e32 v13, 1, v11
	s_waitcnt lgkmcnt(0)
	v_cmp_lt_i32_e32 vcc, v7, v12
	v_cndmask_b32_e32 v8, v13, v8, vcc
	v_cndmask_b32_e32 v9, v9, v11, vcc
	v_cmp_ge_i32_e32 vcc, v8, v9
	s_or_b64 s[4:5], vcc, s[4:5]
	s_andn2_b64 exec, exec, s[4:5]
	s_cbranch_execnz .LBB21_68
; %bb.69:
	s_or_b64 exec, exec, s[4:5]
.LBB21_70:
	s_or_b64 exec, exec, s[0:1]
	v_add_u32_e32 v6, v8, v10
	s_waitcnt lgkmcnt(0)
	v_min_i32_e32 v7, v6, v1
	v_sub_u32_e32 v3, v3, v7
	v_add_u32_e32 v7, 1, v7
	v_cmp_eq_u32_e32 vcc, v3, v7
	v_cmp_lt_i32_e64 s[0:1], v1, v6
	s_and_b64 s[0:1], s[0:1], vcc
	v_cndmask_b32_e64 v6, 0, 1, s[0:1]
	v_add_u32_e32 v1, v3, v5
.LBB21_71:
	s_or_b64 exec, exec, s[2:3]
	v_add_u32_e32 v2, v6, v2
	v_sub_u32_e32 v7, v2, v1
	v_lshlrev_b32_e32 v3, 16, v18
	v_or_b32_e32 v3, v3, v19
	v_lshl_or_b32 v5, v1, 16, v7
	v_subrev_co_u32_e64 v6, s[0:1], 1, v0
	v_cndmask_b32_e64 v3, v5, v3, s[0:1]
	v_mov_b32_e32 v5, 0xff
	v_cndmask_b32_e64 v5, v6, v5, s[0:1]
	v_lshlrev_b32_e32 v5, 2, v5
	ds_write_b32 v5, v3 offset:18432
	v_add_u32_e32 v3, v7, v18
	s_waitcnt lgkmcnt(0)
	s_barrier
	v_lshlrev_b32_e32 v6, 2, v1
	v_lshlrev_b32_e32 v5, 2, v3
	ds_read_b32 v25, v4
	ds_read_b32 v27, v6 offset:19456
	ds_read_b32 v28, v5 offset:19456
	s_waitcnt lgkmcnt(2)
	v_cmp_le_i32_sdwa s[6:7], v25, v7 src0_sel:WORD_0 src1_sel:DWORD
	v_cmp_le_i32_sdwa s[4:5], sext(v25), v1 src0_sel:WORD_1 src1_sel:DWORD
	s_waitcnt lgkmcnt(0)
	v_cmp_lt_i32_e32 vcc, v28, v27
	v_cndmask_b32_e64 v4, 0, 1, vcc
	v_cndmask_b32_e64 v7, 0, 1, s[4:5]
	s_or_b64 vcc, s[4:5], s[6:7]
	v_cndmask_b32_e32 v4, v4, v7, vcc
	v_and_b32_e32 v4, 1, v4
	v_cmp_eq_u32_e64 s[2:3], 1, v4
	s_xor_b64 s[10:11], s[2:3], -1
	v_mov_b32_e32 v29, v27
	s_and_saveexec_b64 s[8:9], s[10:11]
; %bb.72:
	v_add_u32_e32 v4, 0x4800, v6
	ds_read_b32 v29, v4 offset:1028
	v_add_u32_e32 v1, 1, v1
; %bb.73:
	s_or_b64 exec, exec, s[8:9]
	s_xor_b64 s[8:9], s[4:5], -1
	v_cmp_lt_i32_e64 s[4:5], v27, v28
	v_cndmask_b32_e64 v4, 0, 1, s[4:5]
	s_and_b64 s[4:5], s[6:7], s[8:9]
	v_cndmask_b32_e64 v6, 0, 1, s[4:5]
	v_cndmask_b32_e32 v4, v4, v6, vcc
	v_and_b32_e32 v4, 1, v4
	v_cmp_eq_u32_e32 vcc, 1, v4
	s_xor_b64 s[6:7], vcc, -1
	v_mov_b32_e32 v30, v28
	s_and_saveexec_b64 s[4:5], s[6:7]
; %bb.74:
	v_add_u32_e32 v4, 0x4800, v5
	ds_read_b32 v30, v4 offset:1028
	v_add_u32_e32 v3, 1, v3
; %bb.75:
	s_or_b64 exec, exec, s[4:5]
	v_add_u32_sdwa v26, v25, v18 dst_sel:DWORD dst_unused:UNUSED_PAD src0_sel:WORD_0 src1_sel:DWORD
	v_cmp_ge_i32_e32 vcc, v3, v26
	v_cmp_ge_i32_sdwa s[8:9], v1, sext(v25) src0_sel:DWORD src1_sel:WORD_1
	s_waitcnt lgkmcnt(0)
	v_cmp_lt_i32_e64 s[4:5], v30, v29
	v_cndmask_b32_e64 v4, 0, 1, s[8:9]
	v_cndmask_b32_e64 v5, 0, 1, s[4:5]
	s_or_b64 s[4:5], s[8:9], vcc
	v_cndmask_b32_e64 v4, v5, v4, s[4:5]
	v_and_b32_e32 v4, 1, v4
	v_cmp_eq_u32_e64 s[4:5], 1, v4
	s_xor_b64 s[10:11], s[4:5], -1
	v_mov_b32_e32 v31, v29
	v_mov_b32_e32 v4, v1
	s_and_saveexec_b64 s[6:7], s[10:11]
; %bb.76:
	v_lshlrev_b32_e32 v4, 2, v1
	ds_read_b32 v31, v4 offset:19460
	v_add_u32_e32 v4, 1, v1
; %bb.77:
	s_or_b64 exec, exec, s[6:7]
	v_cmp_lt_i32_e64 s[6:7], v29, v30
	s_or_b64 s[6:7], vcc, s[6:7]
	s_xor_b64 s[8:9], s[8:9], -1
	s_and_b64 s[6:7], s[8:9], s[6:7]
	s_xor_b64 s[8:9], s[6:7], -1
	v_mov_b32_e32 v32, v30
	v_mov_b32_e32 v5, v3
	s_and_saveexec_b64 s[6:7], s[8:9]
; %bb.78:
	v_lshlrev_b32_e32 v5, 2, v3
	ds_read_b32 v32, v5 offset:19460
	v_add_u32_e32 v5, 1, v3
; %bb.79:
	s_or_b64 exec, exec, s[6:7]
	v_cmp_ge_i32_e32 vcc, v5, v26
	v_cmp_ge_i32_sdwa s[10:11], v4, sext(v25) src0_sel:DWORD src1_sel:WORD_1
	s_waitcnt lgkmcnt(0)
	v_cmp_lt_i32_e64 s[6:7], v32, v31
	v_cndmask_b32_e64 v6, 0, 1, s[10:11]
	v_cndmask_b32_e64 v7, 0, 1, s[6:7]
	s_or_b64 s[6:7], s[10:11], vcc
	v_cndmask_b32_e64 v6, v7, v6, s[6:7]
	v_and_b32_e32 v6, 1, v6
	v_cmp_eq_u32_e64 s[6:7], 1, v6
	s_xor_b64 s[12:13], s[6:7], -1
	v_mov_b32_e32 v33, v31
	v_mov_b32_e32 v6, v4
	s_and_saveexec_b64 s[8:9], s[12:13]
; %bb.80:
	v_lshlrev_b32_e32 v6, 2, v4
	ds_read_b32 v33, v6 offset:19460
	v_add_u32_e32 v6, 1, v4
; %bb.81:
	s_or_b64 exec, exec, s[8:9]
	v_cmp_lt_i32_e64 s[8:9], v31, v32
	s_or_b64 s[8:9], vcc, s[8:9]
	s_xor_b64 s[10:11], s[10:11], -1
	s_and_b64 s[8:9], s[10:11], s[8:9]
	s_xor_b64 s[10:11], s[8:9], -1
	v_mov_b32_e32 v34, v32
	v_mov_b32_e32 v7, v5
	s_and_saveexec_b64 s[8:9], s[10:11]
; %bb.82:
	v_lshlrev_b32_e32 v7, 2, v5
	ds_read_b32 v34, v7 offset:19460
	v_add_u32_e32 v7, 1, v5
; %bb.83:
	s_or_b64 exec, exec, s[8:9]
	;; [unrolled: 34-line block ×14, first 2 shown]
	v_add_u32_e32 v73, v60, v58
	v_add_u32_sdwa v74, v26, sext(v25) dst_sel:DWORD dst_unused:UNUSED_PAD src0_sel:DWORD src1_sel:WORD_1
	v_mov_b32_e32 v75, 0x8000
	v_cmp_lt_i32_e32 vcc, v73, v74
	v_add_u32_e32 v71, v72, v71
	v_cndmask_b32_e32 v73, 0, v75, vcc
	v_mov_b32_e32 v72, 0x4000
	v_cmp_lt_i32_e32 vcc, v71, v74
	v_add_u32_e32 v69, v70, v69
	v_cndmask_b32_e32 v71, 0, v72, vcc
	;; [unrolled: 4-line block ×6, first 2 shown]
	v_mov_b32_e32 v62, 0x200
	v_cmp_lt_i32_e32 vcc, v61, v74
	v_add_u32_e32 v16, v17, v16
	v_add_u32_e32 v4, v5, v4
	;; [unrolled: 1-line block ×4, first 2 shown]
	v_cndmask_b32_e32 v61, 0, v62, vcc
	v_mov_b32_e32 v17, 0x100
	v_cmp_lt_i32_e32 vcc, v16, v74
	v_add_u32_e32 v14, v15, v14
	v_add_u32_e32 v8, v9, v8
	;; [unrolled: 1-line block ×3, first 2 shown]
	v_cmp_lt_i32_e64 s[40:41], v4, v74
	v_cmp_lt_i32_e64 s[42:43], v1, v74
	;; [unrolled: 1-line block ×3, first 2 shown]
	v_cndmask_b32_e32 v16, 0, v17, vcc
	v_mov_b32_e32 v15, 0x80
	v_cmp_lt_i32_e32 vcc, v14, v74
	v_add_u32_e32 v12, v13, v12
	v_add_u32_e32 v10, v11, v10
	v_cmp_lt_i32_e64 s[36:37], v8, v74
	v_cmp_lt_i32_e64 s[38:39], v6, v74
	v_cndmask_b32_e64 v4, 0, 4, s[40:41]
	v_cndmask_b32_e64 v1, 0, 2, s[42:43]
	;; [unrolled: 1-line block ×3, first 2 shown]
	v_cndmask_b32_e32 v14, 0, v15, vcc
	v_cmp_lt_i32_e32 vcc, v12, v74
	v_cmp_lt_i32_e64 s[34:35], v10, v74
	v_cndmask_b32_e64 v8, 0, 16, s[36:37]
	v_cndmask_b32_e64 v6, 0, 8, s[38:39]
	v_or3_b32 v1, v1, v2, v4
	v_cndmask_b32_e64 v12, 0, 64, vcc
	v_cndmask_b32_e64 v10, 0, 32, s[34:35]
	v_or3_b32 v1, v1, v6, v8
	v_or3_b32 v66, v1, v10, v12
	v_or_b32_e32 v65, v14, v66
	v_or3_b32 v64, v16, v61, v65
	v_or3_b32 v63, v63, v68, v64
	;; [unrolled: 1-line block ×4, first 2 shown]
	v_bcnt_u32_b32 v9, v61, 0
	s_cmp_lg_u32 s56, 0
	v_mov_b32_e32 v10, 0
	s_waitcnt lgkmcnt(0)
	s_barrier
	s_cbranch_scc0 .LBB21_185
; %bb.132:
	v_mbcnt_lo_u32_b32 v1, -1, 0
	v_mbcnt_hi_u32_b32 v16, -1, v1
	v_and_b32_e32 v6, 15, v16
	v_mov_b32_e32 v3, v9
	v_mov_b32_dpp v1, v9 row_shr:1 row_mask:0xf bank_mask:0xf
	v_mov_b32_dpp v7, v10 row_shr:1 row_mask:0xf bank_mask:0xf
	v_cmp_ne_u32_e32 vcc, 0, v6
	v_mov_b32_e32 v5, v9
	v_mov_b32_e32 v2, v10
	;; [unrolled: 1-line block ×3, first 2 shown]
	s_and_saveexec_b64 s[46:47], vcc
; %bb.133:
	v_add_co_u32_e32 v5, vcc, v1, v9
	v_addc_co_u32_e64 v2, s[48:49], 0, 0, vcc
	v_add_co_u32_e32 v1, vcc, 0, v5
	v_addc_co_u32_e32 v2, vcc, v7, v2, vcc
	v_mov_b32_e32 v4, v2
	v_mov_b32_e32 v3, v1
; %bb.134:
	s_or_b64 exec, exec, s[46:47]
	v_mov_b32_dpp v1, v5 row_shr:2 row_mask:0xf bank_mask:0xf
	v_mov_b32_dpp v7, v2 row_shr:2 row_mask:0xf bank_mask:0xf
	v_cmp_lt_u32_e32 vcc, 1, v6
	s_and_saveexec_b64 s[46:47], vcc
; %bb.135:
	v_add_co_u32_e32 v5, vcc, v3, v1
	v_addc_co_u32_e32 v2, vcc, 0, v4, vcc
	v_add_co_u32_e32 v1, vcc, 0, v5
	v_addc_co_u32_e32 v2, vcc, v7, v2, vcc
	v_mov_b32_e32 v4, v2
	v_mov_b32_e32 v3, v1
; %bb.136:
	s_or_b64 exec, exec, s[46:47]
	v_mov_b32_dpp v1, v5 row_shr:4 row_mask:0xf bank_mask:0xf
	v_mov_b32_dpp v7, v2 row_shr:4 row_mask:0xf bank_mask:0xf
	v_cmp_lt_u32_e32 vcc, 3, v6
	s_and_saveexec_b64 s[46:47], vcc
; %bb.137:
	v_add_co_u32_e32 v5, vcc, v3, v1
	v_addc_co_u32_e32 v2, vcc, 0, v4, vcc
	v_add_co_u32_e32 v1, vcc, 0, v5
	v_addc_co_u32_e32 v2, vcc, v7, v2, vcc
	v_mov_b32_e32 v4, v2
	v_mov_b32_e32 v3, v1
; %bb.138:
	s_or_b64 exec, exec, s[46:47]
	v_mov_b32_dpp v1, v5 row_shr:8 row_mask:0xf bank_mask:0xf
	v_mov_b32_dpp v7, v2 row_shr:8 row_mask:0xf bank_mask:0xf
	v_cmp_lt_u32_e32 vcc, 7, v6
	s_and_saveexec_b64 s[46:47], vcc
; %bb.139:
	v_add_co_u32_e32 v5, vcc, v3, v1
	v_addc_co_u32_e32 v2, vcc, 0, v4, vcc
	v_add_co_u32_e32 v1, vcc, 0, v5
	v_addc_co_u32_e32 v2, vcc, v7, v2, vcc
	v_mov_b32_e32 v4, v2
	v_mov_b32_e32 v3, v1
; %bb.140:
	s_or_b64 exec, exec, s[46:47]
	v_and_b32_e32 v7, 16, v16
	v_mov_b32_dpp v1, v5 row_bcast:15 row_mask:0xf bank_mask:0xf
	v_mov_b32_dpp v6, v2 row_bcast:15 row_mask:0xf bank_mask:0xf
	v_cmp_ne_u32_e32 vcc, 0, v7
	s_and_saveexec_b64 s[46:47], vcc
; %bb.141:
	v_add_co_u32_e32 v5, vcc, v3, v1
	v_addc_co_u32_e32 v2, vcc, 0, v4, vcc
	v_add_co_u32_e32 v1, vcc, 0, v5
	v_addc_co_u32_e32 v2, vcc, v6, v2, vcc
	v_mov_b32_e32 v4, v2
	v_mov_b32_e32 v3, v1
; %bb.142:
	s_or_b64 exec, exec, s[46:47]
	v_mov_b32_dpp v7, v5 row_bcast:31 row_mask:0xf bank_mask:0xf
	v_add_co_u32_e64 v7, s[46:47], v3, v7
	v_lshrrev_b32_e32 v6, 6, v0
	v_mov_b32_dpp v1, v2 row_bcast:31 row_mask:0xf bank_mask:0xf
	v_addc_co_u32_e64 v2, s[46:47], 0, v4, s[46:47]
	v_or_b32_e32 v8, 63, v0
	v_cmp_lt_u32_e32 vcc, 31, v16
	v_cmp_eq_u32_e64 s[46:47], v0, v8
	v_lshlrev_b32_e32 v6, 3, v6
	s_and_saveexec_b64 s[48:49], s[46:47]
; %bb.143:
	v_add_co_u32_e64 v8, s[46:47], 0, v7
	v_addc_co_u32_e64 v1, s[46:47], v1, v2, s[46:47]
	v_cndmask_b32_e32 v2, v4, v1, vcc
	v_cndmask_b32_e32 v1, v3, v8, vcc
	ds_write_b64 v6, v[1:2] offset:18432
; %bb.144:
	s_or_b64 exec, exec, s[48:49]
	v_cmp_gt_u32_e64 s[46:47], 4, v0
	s_waitcnt lgkmcnt(0)
	s_barrier
	s_and_saveexec_b64 s[48:49], s[46:47]
	s_cbranch_execz .LBB21_148
; %bb.145:
	v_lshlrev_b32_e32 v3, 3, v0
	ds_read_b64 v[1:2], v3 offset:18432
	v_and_b32_e32 v4, 3, v16
	v_or_b32_e32 v3, 0x4800, v3
	v_cmp_ne_u32_e64 s[46:47], 0, v4
	s_waitcnt lgkmcnt(0)
	v_mov_b32_dpp v12, v1 row_shr:1 row_mask:0xf bank_mask:0xf
	v_mov_b32_dpp v11, v2 row_shr:1 row_mask:0xf bank_mask:0xf
	v_mov_b32_e32 v8, v1
	s_and_saveexec_b64 s[58:59], s[46:47]
; %bb.146:
	v_add_co_u32_e64 v8, s[46:47], v1, v12
	v_addc_co_u32_e64 v2, s[46:47], 0, v2, s[46:47]
	v_add_co_u32_e64 v1, s[46:47], 0, v8
	v_addc_co_u32_e64 v2, s[46:47], v11, v2, s[46:47]
; %bb.147:
	s_or_b64 exec, exec, s[58:59]
	v_mov_b32_dpp v8, v8 row_shr:2 row_mask:0xf bank_mask:0xf
	v_add_co_u32_e64 v8, s[46:47], v1, v8
	v_addc_co_u32_e64 v12, s[46:47], 0, v2, s[46:47]
	v_mov_b32_dpp v11, v2 row_shr:2 row_mask:0xf bank_mask:0xf
	v_add_co_u32_e64 v8, s[46:47], 0, v8
	v_addc_co_u32_e64 v11, s[46:47], v12, v11, s[46:47]
	v_cmp_lt_u32_e64 s[46:47], 1, v4
	v_cndmask_b32_e64 v2, v2, v11, s[46:47]
	v_cndmask_b32_e64 v1, v1, v8, s[46:47]
	ds_write_b64 v3, v[1:2]
.LBB21_148:
	s_or_b64 exec, exec, s[48:49]
	v_cndmask_b32_e32 v1, v5, v7, vcc
	v_cmp_gt_u32_e32 vcc, 64, v0
	v_cmp_lt_u32_e64 s[46:47], 63, v0
	s_waitcnt lgkmcnt(0)
	s_barrier
                                        ; implicit-def: $vgpr11_vgpr12
	s_and_saveexec_b64 s[48:49], s[46:47]
	s_cbranch_execz .LBB21_150
; %bb.149:
	ds_read_b64 v[11:12], v6 offset:18424
	s_waitcnt lgkmcnt(0)
	v_add_u32_e32 v1, v1, v11
.LBB21_150:
	s_or_b64 exec, exec, s[48:49]
	v_subrev_co_u32_e64 v2, s[46:47], 1, v16
	v_and_b32_e32 v3, 64, v16
	v_cmp_lt_i32_e64 s[48:49], v2, v3
	v_cndmask_b32_e64 v2, v2, v16, s[48:49]
	v_lshlrev_b32_e32 v2, 2, v2
	ds_bpermute_b32 v67, v2, v1
	s_and_saveexec_b64 s[48:49], vcc
	s_cbranch_execz .LBB21_190
; %bb.151:
	v_mov_b32_e32 v4, 0
	ds_read_b64 v[1:2], v4 offset:18456
	s_and_saveexec_b64 s[58:59], s[46:47]
	s_cbranch_execz .LBB21_153
; %bb.152:
	s_add_i32 s60, s56, 64
	s_mov_b32 s61, 0
	s_lshl_b64 s[60:61], s[60:61], 4
	s_add_u32 s60, s52, s60
	s_addc_u32 s61, s53, s61
	v_mov_b32_e32 v5, s60
	v_mov_b32_e32 v3, 1
	;; [unrolled: 1-line block ×3, first 2 shown]
	s_waitcnt lgkmcnt(0)
	;;#ASMSTART
	global_store_dwordx4 v[5:6], v[1:4] off	
s_waitcnt vmcnt(0)
	;;#ASMEND
.LBB21_153:
	s_or_b64 exec, exec, s[58:59]
	v_xad_u32 v12, v16, -1, s56
	v_add_u32_e32 v3, 64, v12
	v_lshlrev_b64 v[5:6], 4, v[3:4]
	v_mov_b32_e32 v3, s53
	v_add_co_u32_e32 v13, vcc, s52, v5
	v_addc_co_u32_e32 v14, vcc, v3, v6, vcc
	;;#ASMSTART
	global_load_dwordx4 v[5:8], v[13:14] off glc	
s_waitcnt vmcnt(0)
	;;#ASMEND
	v_cmp_eq_u16_sdwa s[60:61], v7, v4 src0_sel:BYTE_0 src1_sel:DWORD
	s_and_saveexec_b64 s[58:59], s[60:61]
	s_cbranch_execz .LBB21_157
; %bb.154:
	s_mov_b64 s[60:61], 0
	v_mov_b32_e32 v3, 0
.LBB21_155:                             ; =>This Inner Loop Header: Depth=1
	;;#ASMSTART
	global_load_dwordx4 v[5:8], v[13:14] off glc	
s_waitcnt vmcnt(0)
	;;#ASMEND
	v_cmp_ne_u16_sdwa s[62:63], v7, v3 src0_sel:BYTE_0 src1_sel:DWORD
	s_or_b64 s[60:61], s[62:63], s[60:61]
	s_andn2_b64 exec, exec, s[60:61]
	s_cbranch_execnz .LBB21_155
; %bb.156:
	s_or_b64 exec, exec, s[60:61]
.LBB21_157:
	s_or_b64 exec, exec, s[58:59]
	v_and_b32_e32 v68, 63, v16
	v_mov_b32_e32 v3, 2
	v_lshlrev_b64 v[14:15], v16, -1
	v_cmp_ne_u32_e32 vcc, 63, v68
	v_cmp_eq_u16_sdwa s[58:59], v7, v3 src0_sel:BYTE_0 src1_sel:DWORD
	v_addc_co_u32_e32 v8, vcc, 0, v16, vcc
	v_and_b32_e32 v3, s59, v15
	v_lshlrev_b32_e32 v69, 2, v8
	v_or_b32_e32 v3, 0x80000000, v3
	ds_bpermute_b32 v13, v69, v5
	ds_bpermute_b32 v8, v69, v6
	v_and_b32_e32 v4, s58, v14
	v_ffbl_b32_e32 v3, v3
	v_add_u32_e32 v3, 32, v3
	v_ffbl_b32_e32 v4, v4
	v_min_u32_e32 v3, v4, v3
	v_cmp_lt_u32_e32 vcc, v68, v3
	v_mov_b32_e32 v4, v5
	s_and_saveexec_b64 s[58:59], vcc
	s_cbranch_execz .LBB21_159
; %bb.158:
	s_waitcnt lgkmcnt(1)
	v_add_co_u32_e32 v4, vcc, v5, v13
	v_addc_co_u32_e32 v6, vcc, 0, v6, vcc
	v_add_co_u32_e32 v5, vcc, 0, v4
	s_waitcnt lgkmcnt(0)
	v_addc_co_u32_e32 v6, vcc, v8, v6, vcc
.LBB21_159:
	s_or_b64 exec, exec, s[58:59]
	v_cmp_gt_u32_e32 vcc, 62, v68
	s_waitcnt lgkmcnt(0)
	v_cndmask_b32_e64 v8, 0, 2, vcc
	v_add_lshl_u32 v70, v8, v16, 2
	ds_bpermute_b32 v13, v70, v4
	ds_bpermute_b32 v8, v70, v6
	v_add_u32_e32 v71, 2, v68
	v_cmp_le_u32_e32 vcc, v71, v3
	s_and_saveexec_b64 s[58:59], vcc
	s_cbranch_execz .LBB21_161
; %bb.160:
	s_waitcnt lgkmcnt(1)
	v_add_co_u32_e32 v4, vcc, v5, v13
	v_addc_co_u32_e32 v6, vcc, 0, v6, vcc
	v_add_co_u32_e32 v5, vcc, 0, v4
	s_waitcnt lgkmcnt(0)
	v_addc_co_u32_e32 v6, vcc, v8, v6, vcc
.LBB21_161:
	s_or_b64 exec, exec, s[58:59]
	v_cmp_gt_u32_e32 vcc, 60, v68
	s_waitcnt lgkmcnt(0)
	v_cndmask_b32_e64 v8, 0, 4, vcc
	v_add_lshl_u32 v72, v8, v16, 2
	ds_bpermute_b32 v13, v72, v4
	ds_bpermute_b32 v8, v72, v6
	v_add_u32_e32 v73, 4, v68
	v_cmp_le_u32_e32 vcc, v73, v3
	;; [unrolled: 19-line block ×4, first 2 shown]
	s_and_saveexec_b64 s[58:59], vcc
	s_cbranch_execz .LBB21_167
; %bb.166:
	s_waitcnt lgkmcnt(1)
	v_add_co_u32_e32 v4, vcc, v5, v13
	v_addc_co_u32_e32 v6, vcc, 0, v6, vcc
	v_add_co_u32_e32 v5, vcc, 0, v4
	s_waitcnt lgkmcnt(0)
	v_addc_co_u32_e32 v6, vcc, v8, v6, vcc
.LBB21_167:
	s_or_b64 exec, exec, s[58:59]
	s_waitcnt lgkmcnt(0)
	v_mov_b32_e32 v8, 0x80
	v_lshl_or_b32 v78, v16, 2, v8
	ds_bpermute_b32 v4, v78, v4
	ds_bpermute_b32 v8, v78, v6
	v_add_u32_e32 v79, 32, v68
	v_mov_b32_e32 v13, 0
	v_mov_b32_e32 v80, 2
	s_waitcnt lgkmcnt(1)
	v_add_co_u32_e32 v4, vcc, v5, v4
	v_addc_co_u32_e32 v16, vcc, 0, v6, vcc
	v_add_co_u32_e32 v4, vcc, 0, v4
	s_waitcnt lgkmcnt(0)
	v_addc_co_u32_e32 v8, vcc, v16, v8, vcc
	v_cmp_gt_u32_e32 vcc, v79, v3
	v_cndmask_b32_e32 v6, v8, v6, vcc
	v_cndmask_b32_e32 v5, v4, v5, vcc
	s_branch .LBB21_170
.LBB21_168:                             ;   in Loop: Header=BB21_170 Depth=1
	s_or_b64 exec, exec, s[58:59]
	ds_bpermute_b32 v16, v78, v16
	s_waitcnt lgkmcnt(1)
	ds_bpermute_b32 v17, v78, v6
	v_subrev_u32_e32 v12, 64, v12
	s_mov_b64 s[58:59], 0
	s_waitcnt lgkmcnt(1)
	v_add_co_u32_e32 v16, vcc, v5, v16
	v_addc_co_u32_e32 v81, vcc, 0, v6, vcc
	v_add_co_u32_e32 v16, vcc, 0, v16
	s_waitcnt lgkmcnt(0)
	v_addc_co_u32_e32 v17, vcc, v81, v17, vcc
	v_cmp_gt_u32_e32 vcc, v79, v8
	v_cndmask_b32_e32 v5, v16, v5, vcc
	v_cndmask_b32_e32 v6, v17, v6, vcc
	v_add_co_u32_e32 v5, vcc, v5, v3
	v_addc_co_u32_e32 v6, vcc, v6, v4, vcc
.LBB21_169:                             ;   in Loop: Header=BB21_170 Depth=1
	s_and_b64 vcc, exec, s[58:59]
	s_cbranch_vccnz .LBB21_186
.LBB21_170:                             ; =>This Loop Header: Depth=1
                                        ;     Child Loop BB21_173 Depth 2
	v_mov_b32_e32 v3, v5
	v_cmp_ne_u16_sdwa s[58:59], v7, v80 src0_sel:BYTE_0 src1_sel:DWORD
	v_mov_b32_e32 v4, v6
	s_cmp_lg_u64 s[58:59], exec
	s_mov_b64 s[58:59], -1
                                        ; implicit-def: $vgpr5_vgpr6
                                        ; implicit-def: $vgpr7
	s_cbranch_scc1 .LBB21_169
; %bb.171:                              ;   in Loop: Header=BB21_170 Depth=1
	v_lshlrev_b64 v[5:6], 4, v[12:13]
	v_mov_b32_e32 v7, s53
	v_add_co_u32_e32 v16, vcc, s52, v5
	v_addc_co_u32_e32 v17, vcc, v7, v6, vcc
	;;#ASMSTART
	global_load_dwordx4 v[5:8], v[16:17] off glc	
s_waitcnt vmcnt(0)
	;;#ASMEND
	v_cmp_eq_u16_sdwa s[60:61], v7, v13 src0_sel:BYTE_0 src1_sel:DWORD
	s_and_saveexec_b64 s[58:59], s[60:61]
	s_cbranch_execz .LBB21_175
; %bb.172:                              ;   in Loop: Header=BB21_170 Depth=1
	s_mov_b64 s[60:61], 0
.LBB21_173:                             ;   Parent Loop BB21_170 Depth=1
                                        ; =>  This Inner Loop Header: Depth=2
	;;#ASMSTART
	global_load_dwordx4 v[5:8], v[16:17] off glc	
s_waitcnt vmcnt(0)
	;;#ASMEND
	v_cmp_ne_u16_sdwa s[62:63], v7, v13 src0_sel:BYTE_0 src1_sel:DWORD
	s_or_b64 s[60:61], s[62:63], s[60:61]
	s_andn2_b64 exec, exec, s[60:61]
	s_cbranch_execnz .LBB21_173
; %bb.174:                              ;   in Loop: Header=BB21_170 Depth=1
	s_or_b64 exec, exec, s[60:61]
.LBB21_175:                             ;   in Loop: Header=BB21_170 Depth=1
	s_or_b64 exec, exec, s[58:59]
	v_cmp_eq_u16_sdwa s[58:59], v7, v80 src0_sel:BYTE_0 src1_sel:DWORD
	v_and_b32_e32 v8, s59, v15
	v_or_b32_e32 v8, 0x80000000, v8
	ds_bpermute_b32 v81, v69, v5
	ds_bpermute_b32 v17, v69, v6
	v_and_b32_e32 v16, s58, v14
	v_ffbl_b32_e32 v8, v8
	v_add_u32_e32 v8, 32, v8
	v_ffbl_b32_e32 v16, v16
	v_min_u32_e32 v8, v16, v8
	v_cmp_lt_u32_e32 vcc, v68, v8
	v_mov_b32_e32 v16, v5
	s_and_saveexec_b64 s[58:59], vcc
	s_cbranch_execz .LBB21_177
; %bb.176:                              ;   in Loop: Header=BB21_170 Depth=1
	s_waitcnt lgkmcnt(1)
	v_add_co_u32_e32 v16, vcc, v5, v81
	v_addc_co_u32_e32 v6, vcc, 0, v6, vcc
	v_add_co_u32_e32 v5, vcc, 0, v16
	s_waitcnt lgkmcnt(0)
	v_addc_co_u32_e32 v6, vcc, v17, v6, vcc
.LBB21_177:                             ;   in Loop: Header=BB21_170 Depth=1
	s_or_b64 exec, exec, s[58:59]
	s_waitcnt lgkmcnt(1)
	ds_bpermute_b32 v81, v70, v16
	s_waitcnt lgkmcnt(1)
	ds_bpermute_b32 v17, v70, v6
	v_cmp_le_u32_e32 vcc, v71, v8
	s_and_saveexec_b64 s[58:59], vcc
	s_cbranch_execz .LBB21_179
; %bb.178:                              ;   in Loop: Header=BB21_170 Depth=1
	s_waitcnt lgkmcnt(1)
	v_add_co_u32_e32 v16, vcc, v5, v81
	v_addc_co_u32_e32 v6, vcc, 0, v6, vcc
	v_add_co_u32_e32 v5, vcc, 0, v16
	s_waitcnt lgkmcnt(0)
	v_addc_co_u32_e32 v6, vcc, v17, v6, vcc
.LBB21_179:                             ;   in Loop: Header=BB21_170 Depth=1
	s_or_b64 exec, exec, s[58:59]
	s_waitcnt lgkmcnt(1)
	ds_bpermute_b32 v81, v72, v16
	s_waitcnt lgkmcnt(1)
	ds_bpermute_b32 v17, v72, v6
	v_cmp_le_u32_e32 vcc, v73, v8
	;; [unrolled: 16-line block ×4, first 2 shown]
	s_and_saveexec_b64 s[58:59], vcc
	s_cbranch_execz .LBB21_168
; %bb.184:                              ;   in Loop: Header=BB21_170 Depth=1
	s_waitcnt lgkmcnt(1)
	v_add_co_u32_e32 v16, vcc, v5, v81
	v_addc_co_u32_e32 v6, vcc, 0, v6, vcc
	v_add_co_u32_e32 v5, vcc, 0, v16
	s_waitcnt lgkmcnt(0)
	v_addc_co_u32_e32 v6, vcc, v17, v6, vcc
	s_branch .LBB21_168
.LBB21_185:
                                        ; implicit-def: $vgpr1_vgpr2
                                        ; implicit-def: $vgpr5_vgpr6
	s_movk_i32 s33, 0x4820
	s_cbranch_execnz .LBB21_191
	s_branch .LBB21_210
.LBB21_186:
	s_and_saveexec_b64 s[58:59], s[46:47]
	s_cbranch_execz .LBB21_188
; %bb.187:
	s_add_i32 s60, s56, 64
	s_mov_b32 s61, 0
	s_lshl_b64 s[60:61], s[60:61], 4
	s_add_u32 s60, s52, s60
	v_add_co_u32_e32 v5, vcc, v3, v1
	s_addc_u32 s61, s53, s61
	v_mov_b32_e32 v12, s60
	v_addc_co_u32_e32 v6, vcc, v4, v2, vcc
	v_mov_b32_e32 v7, 2
	v_mov_b32_e32 v8, 0
	;; [unrolled: 1-line block ×3, first 2 shown]
	;;#ASMSTART
	global_store_dwordx4 v[12:13], v[5:8] off	
s_waitcnt vmcnt(0)
	;;#ASMEND
	ds_write_b128 v8, v[1:4] offset:18464
.LBB21_188:
	s_or_b64 exec, exec, s[58:59]
	s_and_b64 exec, exec, s[0:1]
; %bb.189:
	v_mov_b32_e32 v1, 0
	ds_write_b64 v1, v[3:4] offset:18456
.LBB21_190:
	s_or_b64 exec, exec, s[48:49]
	v_mov_b32_e32 v1, 0
	s_waitcnt lgkmcnt(0)
	s_barrier
	ds_read_b64 v[3:4], v1 offset:18456
	s_waitcnt lgkmcnt(0)
	s_barrier
	ds_read_b64 v[1:2], v1 offset:18472
	v_cndmask_b32_e64 v5, v67, v11, s[46:47]
	v_cndmask_b32_e64 v4, v5, 0, s[0:1]
	v_add_co_u32_e32 v5, vcc, v3, v4
	s_movk_i32 s33, 0x4820
	s_branch .LBB21_210
.LBB21_191:
	s_waitcnt lgkmcnt(0)
	v_mbcnt_lo_u32_b32 v1, -1, 0
	v_mbcnt_hi_u32_b32 v5, -1, v1
	v_mov_b32_e32 v2, 0
	v_and_b32_e32 v6, 15, v5
	v_mov_b32_e32 v3, v9
	v_mov_b32_dpp v1, v9 row_shr:1 row_mask:0xf bank_mask:0xf
	v_mov_b32_dpp v7, v2 row_shr:1 row_mask:0xf bank_mask:0xf
	v_cmp_ne_u32_e32 vcc, 0, v6
	v_mov_b32_e32 v4, v10
	s_and_saveexec_b64 s[46:47], vcc
; %bb.192:
	v_add_co_u32_e32 v9, vcc, v1, v9
	v_addc_co_u32_e64 v2, s[48:49], 0, 0, vcc
	v_add_co_u32_e32 v1, vcc, 0, v9
	v_addc_co_u32_e32 v2, vcc, v7, v2, vcc
	v_mov_b32_e32 v4, v2
	v_mov_b32_e32 v3, v1
; %bb.193:
	s_or_b64 exec, exec, s[46:47]
	v_mov_b32_dpp v1, v9 row_shr:2 row_mask:0xf bank_mask:0xf
	v_mov_b32_dpp v7, v2 row_shr:2 row_mask:0xf bank_mask:0xf
	v_cmp_lt_u32_e32 vcc, 1, v6
	s_and_saveexec_b64 s[46:47], vcc
; %bb.194:
	v_add_co_u32_e32 v9, vcc, v3, v1
	v_addc_co_u32_e32 v2, vcc, 0, v4, vcc
	v_add_co_u32_e32 v1, vcc, 0, v9
	v_addc_co_u32_e32 v2, vcc, v7, v2, vcc
	v_mov_b32_e32 v4, v2
	v_mov_b32_e32 v3, v1
; %bb.195:
	s_or_b64 exec, exec, s[46:47]
	v_mov_b32_dpp v1, v9 row_shr:4 row_mask:0xf bank_mask:0xf
	v_mov_b32_dpp v7, v2 row_shr:4 row_mask:0xf bank_mask:0xf
	v_cmp_lt_u32_e32 vcc, 3, v6
	s_and_saveexec_b64 s[46:47], vcc
; %bb.196:
	v_add_co_u32_e32 v9, vcc, v3, v1
	v_addc_co_u32_e32 v2, vcc, 0, v4, vcc
	;; [unrolled: 13-line block ×3, first 2 shown]
	v_add_co_u32_e32 v1, vcc, 0, v9
	v_addc_co_u32_e32 v2, vcc, v7, v2, vcc
	v_mov_b32_e32 v4, v2
	v_mov_b32_e32 v3, v1
; %bb.199:
	s_or_b64 exec, exec, s[46:47]
	v_and_b32_e32 v7, 16, v5
	v_mov_b32_dpp v1, v9 row_bcast:15 row_mask:0xf bank_mask:0xf
	v_mov_b32_dpp v6, v2 row_bcast:15 row_mask:0xf bank_mask:0xf
	v_cmp_ne_u32_e32 vcc, 0, v7
	s_and_saveexec_b64 s[46:47], vcc
; %bb.200:
	v_add_co_u32_e32 v9, vcc, v3, v1
	v_addc_co_u32_e32 v2, vcc, 0, v4, vcc
	v_add_co_u32_e32 v1, vcc, 0, v9
	v_addc_co_u32_e32 v2, vcc, v6, v2, vcc
	v_mov_b32_e32 v4, v2
	v_mov_b32_e32 v3, v1
; %bb.201:
	s_or_b64 exec, exec, s[46:47]
	v_mov_b32_dpp v6, v9 row_bcast:31 row_mask:0xf bank_mask:0xf
	v_add_co_u32_e64 v6, s[46:47], v3, v6
	v_mov_b32_dpp v1, v2 row_bcast:31 row_mask:0xf bank_mask:0xf
	v_addc_co_u32_e64 v2, s[46:47], 0, v4, s[46:47]
	v_lshrrev_b32_e32 v7, 6, v0
	v_or_b32_e32 v8, 63, v0
	v_cmp_lt_u32_e32 vcc, 31, v5
	v_cmp_eq_u32_e64 s[46:47], v0, v8
	v_lshlrev_b32_e32 v7, 3, v7
	s_and_saveexec_b64 s[48:49], s[46:47]
; %bb.202:
	v_add_co_u32_e64 v8, s[46:47], 0, v6
	v_addc_co_u32_e64 v1, s[46:47], v1, v2, s[46:47]
	v_cndmask_b32_e32 v2, v4, v1, vcc
	v_cndmask_b32_e32 v1, v3, v8, vcc
	ds_write_b64 v7, v[1:2] offset:18432
; %bb.203:
	s_or_b64 exec, exec, s[48:49]
	v_cmp_gt_u32_e64 s[46:47], 4, v0
	s_waitcnt lgkmcnt(0)
	s_barrier
	s_and_saveexec_b64 s[48:49], s[46:47]
	s_cbranch_execz .LBB21_207
; %bb.204:
	v_lshlrev_b32_e32 v3, 3, v0
	ds_read_b64 v[1:2], v3 offset:18432
	v_and_b32_e32 v4, 3, v5
	v_or_b32_e32 v3, 0x4800, v3
	v_cmp_ne_u32_e64 s[46:47], 0, v4
	s_waitcnt lgkmcnt(0)
	v_mov_b32_dpp v11, v1 row_shr:1 row_mask:0xf bank_mask:0xf
	v_mov_b32_dpp v10, v2 row_shr:1 row_mask:0xf bank_mask:0xf
	v_mov_b32_e32 v8, v1
	s_and_saveexec_b64 s[58:59], s[46:47]
; %bb.205:
	v_add_co_u32_e64 v8, s[46:47], v1, v11
	v_addc_co_u32_e64 v2, s[46:47], 0, v2, s[46:47]
	v_add_co_u32_e64 v1, s[46:47], 0, v8
	v_addc_co_u32_e64 v2, s[46:47], v10, v2, s[46:47]
; %bb.206:
	s_or_b64 exec, exec, s[58:59]
	v_mov_b32_dpp v8, v8 row_shr:2 row_mask:0xf bank_mask:0xf
	v_add_co_u32_e64 v8, s[46:47], v1, v8
	v_addc_co_u32_e64 v11, s[46:47], 0, v2, s[46:47]
	v_mov_b32_dpp v10, v2 row_shr:2 row_mask:0xf bank_mask:0xf
	v_add_co_u32_e64 v8, s[46:47], 0, v8
	v_addc_co_u32_e64 v10, s[46:47], v11, v10, s[46:47]
	v_cmp_lt_u32_e64 s[46:47], 1, v4
	v_cndmask_b32_e64 v2, v2, v10, s[46:47]
	v_cndmask_b32_e64 v1, v1, v8, s[46:47]
	ds_write_b64 v3, v[1:2]
.LBB21_207:
	s_or_b64 exec, exec, s[48:49]
	v_mov_b32_e32 v1, 0
	v_mov_b32_e32 v2, 0
	;; [unrolled: 1-line block ×3, first 2 shown]
	v_cmp_lt_u32_e64 s[46:47], 63, v0
	s_waitcnt lgkmcnt(0)
	s_barrier
	v_mov_b32_e32 v4, 0
	s_and_saveexec_b64 s[48:49], s[46:47]
; %bb.208:
	ds_read_b64 v[3:4], v7 offset:18424
; %bb.209:
	s_or_b64 exec, exec, s[48:49]
	s_waitcnt lgkmcnt(0)
	v_cndmask_b32_e32 v4, v9, v6, vcc
	v_subrev_co_u32_e32 v6, vcc, 1, v5
	v_and_b32_e32 v7, 64, v5
	v_cmp_lt_i32_e64 s[46:47], v6, v7
	v_cndmask_b32_e64 v5, v6, v5, s[46:47]
	v_add_u32_e32 v4, v4, v3
	v_lshlrev_b32_e32 v5, 2, v5
	ds_bpermute_b32 v4, v5, v4
	s_movk_i32 s33, 0x4818
	s_waitcnt lgkmcnt(0)
	v_cndmask_b32_e32 v5, v4, v3, vcc
.LBB21_210:
	v_mov_b32_e32 v3, s33
	ds_read_b64 v[3:4], v3
	s_waitcnt lgkmcnt(1)
	v_sub_u32_e32 v5, v5, v1
	s_waitcnt lgkmcnt(0)
	s_barrier
	s_and_saveexec_b64 s[46:47], s[44:45]
	s_cbranch_execnz .LBB21_256
; %bb.211:
	s_or_b64 exec, exec, s[46:47]
	s_and_saveexec_b64 s[2:3], s[42:43]
	s_cbranch_execnz .LBB21_257
.LBB21_212:
	s_or_b64 exec, exec, s[2:3]
	s_and_saveexec_b64 s[2:3], s[40:41]
	s_cbranch_execnz .LBB21_258
.LBB21_213:
	s_or_b64 exec, exec, s[2:3]
	s_and_saveexec_b64 s[2:3], s[38:39]
	s_cbranch_execnz .LBB21_259
.LBB21_214:
	s_or_b64 exec, exec, s[2:3]
	s_and_saveexec_b64 s[2:3], s[36:37]
	s_cbranch_execnz .LBB21_260
.LBB21_215:
	s_or_b64 exec, exec, s[2:3]
	s_and_saveexec_b64 s[2:3], s[34:35]
.LBB21_216:
	v_cndmask_b32_e64 v6, v37, v38, s[12:13]
	v_lshlrev_b32_e32 v7, 2, v5
	v_add_u32_e32 v5, 1, v5
	ds_write_b32 v7, v6 offset:19456
.LBB21_217:
	s_or_b64 exec, exec, s[2:3]
	v_and_b32_e32 v6, 64, v66
	v_cmp_ne_u32_e32 vcc, 0, v6
	s_and_saveexec_b64 s[2:3], vcc
; %bb.218:
	v_cndmask_b32_e64 v6, v39, v40, s[14:15]
	v_lshlrev_b32_e32 v7, 2, v5
	v_add_u32_e32 v5, 1, v5
	ds_write_b32 v7, v6 offset:19456
; %bb.219:
	s_or_b64 exec, exec, s[2:3]
	v_and_b32_e32 v6, 0x80, v65
	v_cmp_ne_u32_e32 vcc, 0, v6
	s_and_saveexec_b64 s[2:3], vcc
; %bb.220:
	v_cndmask_b32_e64 v6, v41, v42, s[16:17]
	v_lshlrev_b32_e32 v7, 2, v5
	v_add_u32_e32 v5, 1, v5
	ds_write_b32 v7, v6 offset:19456
; %bb.221:
	;; [unrolled: 10-line block ×9, first 2 shown]
	s_or_b64 exec, exec, s[2:3]
	v_and_b32_e32 v6, 0x8000, v61
	v_cmp_ne_u32_e32 vcc, 0, v6
	s_and_saveexec_b64 s[4:5], vcc
	s_cbranch_execz .LBB21_237
; %bb.236:
	v_cmp_lt_i32_e32 vcc, v59, v57
	v_cmp_lt_i32_e64 s[2:3], v60, v26
	v_cmp_ge_i32_sdwa s[6:7], v58, sext(v25) src0_sel:DWORD src1_sel:WORD_1
	s_and_b64 s[2:3], s[2:3], vcc
	s_or_b64 vcc, s[6:7], s[2:3]
	v_cndmask_b32_e32 v6, v57, v59, vcc
	v_lshlrev_b32_e32 v5, 2, v5
	ds_write_b32 v5, v6 offset:19456
.LBB21_237:
	s_or_b64 exec, exec, s[4:5]
	v_cmp_lt_i32_e32 vcc, v0, v3
	s_waitcnt lgkmcnt(0)
	s_barrier
	s_and_saveexec_b64 s[2:3], vcc
	s_cbranch_execz .LBB21_240
; %bb.238:
	v_lshlrev_b64 v[5:6], 2, v[1:2]
	v_mov_b32_e32 v8, s55
	v_add_co_u32_e32 v5, vcc, s54, v5
	v_addc_co_u32_e32 v6, vcc, v8, v6, vcc
	v_add_co_u32_e32 v5, vcc, v5, v24
	v_or_b32_e32 v7, 0x4c00, v24
	v_addc_co_u32_e32 v6, vcc, 0, v6, vcc
	s_mov_b64 s[4:5], 0
	v_mov_b32_e32 v8, v0
.LBB21_239:                             ; =>This Inner Loop Header: Depth=1
	ds_read_b32 v9, v7
	v_add_u32_e32 v8, 0x100, v8
	v_cmp_ge_i32_e32 vcc, v8, v3
	s_or_b64 s[4:5], vcc, s[4:5]
	v_add_u32_e32 v7, 0x400, v7
	s_waitcnt lgkmcnt(0)
	global_store_dword v[5:6], v9, off
	v_add_co_u32_e32 v5, vcc, 0x400, v5
	v_addc_co_u32_e32 v6, vcc, 0, v6, vcc
	s_andn2_b64 exec, exec, s[4:5]
	s_cbranch_execnz .LBB21_239
.LBB21_240:
	s_or_b64 exec, exec, s[2:3]
	s_and_saveexec_b64 s[2:3], s[0:1]
	s_cbranch_execz .LBB21_242
; %bb.241:
	v_add_co_u32_e32 v1, vcc, v3, v1
	v_mov_b32_e32 v5, 0
	v_addc_co_u32_e32 v2, vcc, v4, v2, vcc
	global_store_dwordx2 v5, v[1:2], s[50:51]
.LBB21_242:
	s_or_b64 exec, exec, s[2:3]
	s_mov_b64 s[0:1], 0
.LBB21_243:
	s_and_b64 vcc, exec, s[0:1]
	s_cbranch_vccz .LBB21_456
; %bb.244:
	v_mov_b32_e32 v1, 0
	v_lshlrev_b32_e32 v4, 2, v0
	v_sub_u32_e32 v6, v0, v18
	v_mov_b32_e32 v7, v1
	v_add_co_u32_e32 v5, vcc, v22, v4
	v_lshlrev_b64 v[6:7], 2, v[6:7]
	v_addc_co_u32_e32 v3, vcc, 0, v23, vcc
	v_add_co_u32_e32 v2, vcc, v20, v6
	v_addc_co_u32_e32 v6, vcc, v21, v7, vcc
	v_cmp_lt_i32_e32 vcc, v0, v18
	v_cndmask_b32_e32 v7, v6, v3, vcc
	v_cndmask_b32_e32 v6, v2, v5, vcc
	v_or_b32_e32 v8, 0x100, v0
	global_load_dword v2, v[6:7], off
	s_movk_i32 s0, 0x400
	v_sub_u32_e32 v6, v8, v18
	v_mov_b32_e32 v7, v1
	v_add_co_u32_e32 v9, vcc, s0, v5
	v_lshlrev_b64 v[6:7], 2, v[6:7]
	v_addc_co_u32_e32 v10, vcc, 0, v3, vcc
	v_add_co_u32_e32 v6, vcc, v20, v6
	v_addc_co_u32_e32 v7, vcc, v21, v7, vcc
	v_cmp_lt_i32_e32 vcc, v8, v18
	v_cndmask_b32_e32 v7, v7, v10, vcc
	v_cndmask_b32_e32 v6, v6, v9, vcc
	v_or_b32_e32 v9, 0x200, v0
	global_load_dword v6, v[6:7], off
	s_movk_i32 s0, 0x800
	;; [unrolled: 13-line block ×3, first 2 shown]
	v_sub_u32_e32 v8, v10, v18
	v_mov_b32_e32 v9, v1
	v_add_co_u32_e32 v11, vcc, s0, v5
	v_lshlrev_b64 v[8:9], 2, v[8:9]
	v_addc_co_u32_e32 v12, vcc, 0, v3, vcc
	v_add_co_u32_e32 v8, vcc, v20, v8
	v_addc_co_u32_e32 v9, vcc, v21, v9, vcc
	v_cmp_lt_i32_e32 vcc, v10, v18
	v_cndmask_b32_e32 v9, v9, v12, vcc
	v_cndmask_b32_e32 v8, v8, v11, vcc
	v_or_b32_e32 v11, 0x400, v0
	global_load_dword v8, v[8:9], off
	v_lshlrev_b32_e32 v9, 2, v11
	v_add_co_u32_e32 v12, vcc, v22, v9
	v_sub_u32_e32 v9, v11, v18
	v_mov_b32_e32 v10, v1
	v_lshlrev_b64 v[9:10], 2, v[9:10]
	v_addc_co_u32_e32 v13, vcc, 0, v23, vcc
	v_add_co_u32_e32 v9, vcc, v20, v9
	v_addc_co_u32_e32 v10, vcc, v21, v10, vcc
	v_cmp_lt_i32_e32 vcc, v11, v18
	v_cndmask_b32_e32 v10, v10, v13, vcc
	v_cndmask_b32_e32 v9, v9, v12, vcc
	v_or_b32_e32 v12, 0x500, v0
	global_load_dword v9, v[9:10], off
	s_movk_i32 s0, 0x1400
	v_sub_u32_e32 v10, v12, v18
	v_mov_b32_e32 v11, v1
	v_add_co_u32_e32 v13, vcc, s0, v5
	v_lshlrev_b64 v[10:11], 2, v[10:11]
	v_addc_co_u32_e32 v14, vcc, 0, v3, vcc
	v_add_co_u32_e32 v10, vcc, v20, v10
	v_addc_co_u32_e32 v11, vcc, v21, v11, vcc
	v_cmp_lt_i32_e32 vcc, v12, v18
	v_cndmask_b32_e32 v11, v11, v14, vcc
	v_cndmask_b32_e32 v10, v10, v13, vcc
	v_or_b32_e32 v13, 0x600, v0
	global_load_dword v10, v[10:11], off
	s_movk_i32 s0, 0x1800
	v_sub_u32_e32 v11, v13, v18
	v_mov_b32_e32 v12, v1
	v_add_co_u32_e32 v14, vcc, s0, v5
	;; [unrolled: 13-line block ×3, first 2 shown]
	v_lshlrev_b64 v[12:13], 2, v[12:13]
	v_addc_co_u32_e32 v16, vcc, 0, v3, vcc
	v_add_co_u32_e32 v12, vcc, v20, v12
	v_addc_co_u32_e32 v13, vcc, v21, v13, vcc
	v_cmp_lt_i32_e32 vcc, v14, v18
	v_cndmask_b32_e32 v13, v13, v16, vcc
	v_cndmask_b32_e32 v12, v12, v15, vcc
	v_or_b32_e32 v15, 0x800, v0
	global_load_dword v12, v[12:13], off
	v_lshlrev_b32_e32 v13, 2, v15
	v_add_co_u32_e32 v16, vcc, v22, v13
	v_sub_u32_e32 v13, v15, v18
	v_mov_b32_e32 v14, v1
	v_lshlrev_b64 v[13:14], 2, v[13:14]
	v_addc_co_u32_e32 v17, vcc, 0, v23, vcc
	v_add_co_u32_e32 v13, vcc, v20, v13
	v_addc_co_u32_e32 v14, vcc, v21, v14, vcc
	v_cmp_lt_i32_e32 vcc, v15, v18
	v_cndmask_b32_e32 v14, v14, v17, vcc
	v_cndmask_b32_e32 v13, v13, v16, vcc
	v_or_b32_e32 v16, 0x900, v0
	global_load_dword v13, v[13:14], off
	s_movk_i32 s0, 0x2400
	v_sub_u32_e32 v14, v16, v18
	v_mov_b32_e32 v15, v1
	v_add_co_u32_e32 v17, vcc, s0, v5
	v_lshlrev_b64 v[14:15], 2, v[14:15]
	v_addc_co_u32_e32 v24, vcc, 0, v3, vcc
	v_add_co_u32_e32 v14, vcc, v20, v14
	v_addc_co_u32_e32 v15, vcc, v21, v15, vcc
	v_cmp_lt_i32_e32 vcc, v16, v18
	v_cndmask_b32_e32 v15, v15, v24, vcc
	v_cndmask_b32_e32 v14, v14, v17, vcc
	v_or_b32_e32 v17, 0xa00, v0
	global_load_dword v14, v[14:15], off
	s_movk_i32 s0, 0x2800
	v_sub_u32_e32 v15, v17, v18
	v_mov_b32_e32 v16, v1
	v_add_co_u32_e32 v24, vcc, s0, v5
	;; [unrolled: 13-line block ×3, first 2 shown]
	v_lshlrev_b64 v[16:17], 2, v[16:17]
	v_addc_co_u32_e32 v26, vcc, 0, v3, vcc
	v_add_co_u32_e32 v16, vcc, v20, v16
	v_addc_co_u32_e32 v17, vcc, v21, v17, vcc
	v_cmp_lt_i32_e32 vcc, v24, v18
	v_cndmask_b32_e32 v17, v17, v26, vcc
	v_cndmask_b32_e32 v16, v16, v25, vcc
	global_load_dword v16, v[16:17], off
	v_or_b32_e32 v17, 0xc00, v0
	v_lshlrev_b32_e32 v24, 2, v17
	v_add_co_u32_e32 v24, vcc, v22, v24
	v_addc_co_u32_e32 v25, vcc, 0, v23, vcc
	v_sub_u32_e32 v22, v17, v18
	v_mov_b32_e32 v23, v1
	v_lshlrev_b64 v[22:23], 2, v[22:23]
	s_movk_i32 s0, 0x3400
	v_add_co_u32_e32 v22, vcc, v20, v22
	v_addc_co_u32_e32 v23, vcc, v21, v23, vcc
	v_cmp_lt_i32_e32 vcc, v17, v18
	v_cndmask_b32_e32 v23, v23, v25, vcc
	v_cndmask_b32_e32 v22, v22, v24, vcc
	v_or_b32_e32 v24, 0xd00, v0
	global_load_dword v17, v[22:23], off
	v_sub_u32_e32 v22, v24, v18
	v_mov_b32_e32 v23, v1
	v_add_co_u32_e32 v25, vcc, s0, v5
	v_lshlrev_b64 v[22:23], 2, v[22:23]
	v_addc_co_u32_e32 v26, vcc, 0, v3, vcc
	v_add_co_u32_e32 v22, vcc, v20, v22
	v_addc_co_u32_e32 v23, vcc, v21, v23, vcc
	v_cmp_lt_i32_e32 vcc, v24, v18
	v_cndmask_b32_e32 v23, v23, v26, vcc
	v_cndmask_b32_e32 v22, v22, v25, vcc
	v_or_b32_e32 v25, 0xe00, v0
	global_load_dword v22, v[22:23], off
	s_movk_i32 s0, 0x3800
	v_sub_u32_e32 v23, v25, v18
	v_mov_b32_e32 v24, v1
	v_add_co_u32_e32 v26, vcc, s0, v5
	v_lshlrev_b64 v[23:24], 2, v[23:24]
	v_addc_co_u32_e32 v27, vcc, 0, v3, vcc
	v_add_co_u32_e32 v23, vcc, v20, v23
	v_addc_co_u32_e32 v24, vcc, v21, v24, vcc
	v_cmp_lt_i32_e32 vcc, v25, v18
	v_cndmask_b32_e32 v24, v24, v27, vcc
	v_cndmask_b32_e32 v23, v23, v26, vcc
	global_load_dword v24, v[23:24], off
	v_or_b32_e32 v25, 0xf00, v0
	v_add_u32_e32 v23, v19, v18
	v_cmp_lt_i32_e32 vcc, v25, v23
	v_mov_b32_e32 v26, 0
	s_and_saveexec_b64 s[0:1], vcc
	s_cbranch_execz .LBB21_246
; %bb.245:
	v_sub_u32_e32 v26, v25, v18
	v_mov_b32_e32 v27, 0
	v_add_co_u32_e32 v5, vcc, 0x3c00, v5
	v_lshlrev_b64 v[26:27], 2, v[26:27]
	v_addc_co_u32_e32 v3, vcc, 0, v3, vcc
	v_add_co_u32_e32 v20, vcc, v20, v26
	v_addc_co_u32_e32 v21, vcc, v21, v27, vcc
	v_cmp_lt_i32_e32 vcc, v25, v18
	v_cndmask_b32_e32 v21, v21, v3, vcc
	v_cndmask_b32_e32 v20, v20, v5, vcc
	global_load_dword v26, v[20:21], off
.LBB21_246:
	s_or_b64 exec, exec, s[0:1]
	s_waitcnt vmcnt(13)
	ds_write2st64_b32 v4, v2, v6 offset0:4 offset1:8
	s_waitcnt vmcnt(11)
	ds_write2st64_b32 v4, v7, v8 offset0:12 offset1:16
	;; [unrolled: 2-line block ×8, first 2 shown]
	v_lshlrev_b32_e32 v2, 4, v0
	v_min_i32_e32 v3, v23, v2
	v_sub_u32_e32 v2, v3, v19
	v_max_i32_e32 v2, 0, v2
	v_min_i32_e32 v6, v18, v3
	v_lshlrev_b32_e32 v5, 2, v18
	v_cmp_lt_i32_e32 vcc, v2, v6
	s_waitcnt lgkmcnt(0)
	s_barrier
	s_and_saveexec_b64 s[0:1], vcc
	s_cbranch_execz .LBB21_250
; %bb.247:
	v_lshl_add_u32 v7, v3, 2, v5
	v_add_u32_e32 v7, 0x400, v7
	s_mov_b64 s[2:3], 0
.LBB21_248:                             ; =>This Inner Loop Header: Depth=1
	v_add_u32_e32 v8, v6, v2
	v_lshrrev_b32_e32 v8, 1, v8
	v_not_b32_e32 v10, v8
	v_lshlrev_b32_e32 v9, 2, v8
	v_lshl_add_u32 v10, v10, 2, v7
	ds_read_b32 v9, v9 offset:1024
	ds_read_b32 v10, v10
	v_add_u32_e32 v11, 1, v8
	s_waitcnt lgkmcnt(0)
	v_cmp_lt_i32_e32 vcc, v10, v9
	v_cndmask_b32_e32 v6, v6, v8, vcc
	v_cndmask_b32_e32 v2, v11, v2, vcc
	v_cmp_ge_i32_e32 vcc, v2, v6
	s_or_b64 s[2:3], vcc, s[2:3]
	s_andn2_b64 exec, exec, s[2:3]
	s_cbranch_execnz .LBB21_248
; %bb.249:
	s_or_b64 exec, exec, s[2:3]
.LBB21_250:
	s_or_b64 exec, exec, s[0:1]
	v_sub_u32_e32 v9, v3, v2
	v_cmp_lt_i32_e32 vcc, v9, v19
	v_mov_b32_e32 v7, 0
	s_and_saveexec_b64 s[2:3], vcc
	s_cbranch_execz .LBB21_285
; %bb.251:
	v_lshl_add_u32 v7, v9, 2, v5
	ds_read_b32 v8, v7 offset:1024
	v_mov_b32_e32 v6, 0
	v_cmp_lt_i32_e32 vcc, 0, v2
	v_mov_b32_e32 v10, 0
	s_and_saveexec_b64 s[0:1], vcc
	s_cbranch_execnz .LBB21_261
; %bb.252:
	s_or_b64 exec, exec, s[0:1]
	v_cmp_lt_i32_e32 vcc, v6, v10
	s_and_saveexec_b64 s[0:1], vcc
	s_cbranch_execnz .LBB21_262
.LBB21_253:
	s_or_b64 exec, exec, s[0:1]
	v_cmp_lt_i32_e32 vcc, v6, v10
	s_and_saveexec_b64 s[0:1], vcc
	s_cbranch_execnz .LBB21_263
.LBB21_254:
	s_or_b64 exec, exec, s[0:1]
	v_cmp_lt_i32_e32 vcc, v6, v10
	s_and_saveexec_b64 s[0:1], vcc
	s_cbranch_execnz .LBB21_264
.LBB21_255:
	s_or_b64 exec, exec, s[0:1]
	v_cmp_lt_i32_e32 vcc, v6, v10
	s_and_saveexec_b64 s[0:1], vcc
	s_cbranch_execnz .LBB21_265
	s_branch .LBB21_268
.LBB21_256:
	v_cndmask_b32_e64 v6, v27, v28, s[2:3]
	v_lshlrev_b32_e32 v7, 2, v5
	v_add_u32_e32 v5, 1, v5
	ds_write_b32 v7, v6 offset:19456
	s_or_b64 exec, exec, s[46:47]
	s_and_saveexec_b64 s[2:3], s[42:43]
	s_cbranch_execz .LBB21_212
.LBB21_257:
	v_cndmask_b32_e64 v6, v29, v30, s[4:5]
	v_lshlrev_b32_e32 v7, 2, v5
	v_add_u32_e32 v5, 1, v5
	ds_write_b32 v7, v6 offset:19456
	s_or_b64 exec, exec, s[2:3]
	s_and_saveexec_b64 s[2:3], s[40:41]
	s_cbranch_execz .LBB21_213
.LBB21_258:
	v_cndmask_b32_e64 v6, v31, v32, s[6:7]
	v_lshlrev_b32_e32 v7, 2, v5
	v_add_u32_e32 v5, 1, v5
	ds_write_b32 v7, v6 offset:19456
	s_or_b64 exec, exec, s[2:3]
	s_and_saveexec_b64 s[2:3], s[38:39]
	s_cbranch_execz .LBB21_214
.LBB21_259:
	v_cndmask_b32_e64 v6, v33, v34, s[8:9]
	v_lshlrev_b32_e32 v7, 2, v5
	v_add_u32_e32 v5, 1, v5
	ds_write_b32 v7, v6 offset:19456
	s_or_b64 exec, exec, s[2:3]
	s_and_saveexec_b64 s[2:3], s[36:37]
	s_cbranch_execz .LBB21_215
.LBB21_260:
	v_cndmask_b32_e64 v6, v35, v36, s[10:11]
	v_lshlrev_b32_e32 v7, 2, v5
	v_add_u32_e32 v5, 1, v5
	ds_write_b32 v7, v6 offset:19456
	s_or_b64 exec, exec, s[2:3]
	s_and_saveexec_b64 s[2:3], s[34:35]
	s_cbranch_execnz .LBB21_216
	s_branch .LBB21_217
.LBB21_261:
	s_movk_i32 s4, 0x1ff
	v_mul_lo_u32 v6, v2, s4
	v_ashrrev_i32_e32 v10, 9, v6
	v_lshlrev_b32_e32 v6, 2, v10
	ds_read_b32 v6, v6 offset:1024
	v_add_u32_e32 v11, 1, v10
	s_waitcnt lgkmcnt(0)
	v_cmp_lt_i32_e32 vcc, v6, v8
	v_cndmask_b32_e32 v6, 0, v11, vcc
	v_cndmask_b32_e32 v10, v10, v2, vcc
	s_or_b64 exec, exec, s[0:1]
	v_cmp_lt_i32_e32 vcc, v6, v10
	s_and_saveexec_b64 s[0:1], vcc
	s_cbranch_execz .LBB21_253
.LBB21_262:
	v_sub_u32_e32 v11, v6, v10
	v_lshl_add_u32 v11, v10, 7, v11
	v_ashrrev_i32_e32 v11, 7, v11
	v_lshlrev_b32_e32 v12, 2, v11
	ds_read_b32 v12, v12 offset:1024
	v_add_u32_e32 v13, 1, v11
	s_waitcnt lgkmcnt(0)
	v_cmp_lt_i32_e32 vcc, v12, v8
	v_cndmask_b32_e32 v6, v6, v13, vcc
	v_cndmask_b32_e32 v10, v11, v10, vcc
	s_or_b64 exec, exec, s[0:1]
	v_cmp_lt_i32_e32 vcc, v6, v10
	s_and_saveexec_b64 s[0:1], vcc
	s_cbranch_execz .LBB21_254
.LBB21_263:
	v_sub_u32_e32 v11, v6, v10
	v_lshl_add_u32 v11, v10, 5, v11
	v_ashrrev_i32_e32 v11, 5, v11
	v_lshlrev_b32_e32 v12, 2, v11
	ds_read_b32 v12, v12 offset:1024
	v_add_u32_e32 v13, 1, v11
	s_waitcnt lgkmcnt(0)
	v_cmp_lt_i32_e32 vcc, v12, v8
	v_cndmask_b32_e32 v6, v6, v13, vcc
	v_cndmask_b32_e32 v10, v11, v10, vcc
	s_or_b64 exec, exec, s[0:1]
	v_cmp_lt_i32_e32 vcc, v6, v10
	s_and_saveexec_b64 s[0:1], vcc
	s_cbranch_execz .LBB21_255
.LBB21_264:
	v_sub_u32_e32 v11, v6, v10
	v_lshl_add_u32 v11, v10, 4, v11
	v_ashrrev_i32_e32 v11, 4, v11
	v_lshlrev_b32_e32 v12, 2, v11
	ds_read_b32 v12, v12 offset:1024
	v_add_u32_e32 v13, 1, v11
	s_waitcnt lgkmcnt(0)
	v_cmp_lt_i32_e32 vcc, v12, v8
	v_cndmask_b32_e32 v6, v6, v13, vcc
	v_cndmask_b32_e32 v10, v11, v10, vcc
	s_or_b64 exec, exec, s[0:1]
	v_cmp_lt_i32_e32 vcc, v6, v10
	s_and_saveexec_b64 s[0:1], vcc
	s_cbranch_execz .LBB21_268
.LBB21_265:
	s_mov_b64 s[4:5], 0
.LBB21_266:                             ; =>This Inner Loop Header: Depth=1
	v_sub_u32_e32 v11, v6, v10
	v_lshl_add_u32 v11, v10, 1, v11
	v_ashrrev_i32_e32 v11, 1, v11
	v_lshlrev_b32_e32 v12, 2, v11
	ds_read_b32 v12, v12 offset:1024
	v_add_u32_e32 v13, 1, v11
	s_waitcnt lgkmcnt(0)
	v_cmp_lt_i32_e32 vcc, v12, v8
	v_cndmask_b32_e32 v6, v6, v13, vcc
	v_cndmask_b32_e32 v10, v11, v10, vcc
	v_cmp_ge_i32_e32 vcc, v6, v10
	s_or_b64 s[4:5], vcc, s[4:5]
	s_andn2_b64 exec, exec, s[4:5]
	s_cbranch_execnz .LBB21_266
; %bb.267:
	s_or_b64 exec, exec, s[4:5]
.LBB21_268:
	s_or_b64 exec, exec, s[0:1]
	v_mov_b32_e32 v10, 0
	v_cmp_lt_i32_e32 vcc, 0, v9
	v_mov_b32_e32 v11, v9
	s_and_saveexec_b64 s[0:1], vcc
	s_cbranch_execnz .LBB21_273
; %bb.269:
	s_or_b64 exec, exec, s[0:1]
	v_cmp_lt_i32_e32 vcc, v10, v11
	s_and_saveexec_b64 s[0:1], vcc
	s_cbranch_execnz .LBB21_274
.LBB21_270:
	s_or_b64 exec, exec, s[0:1]
	v_cmp_lt_i32_e32 vcc, v10, v11
	s_and_saveexec_b64 s[0:1], vcc
	s_cbranch_execnz .LBB21_275
.LBB21_271:
	s_or_b64 exec, exec, s[0:1]
	v_cmp_lt_i32_e32 vcc, v10, v11
	s_and_saveexec_b64 s[0:1], vcc
	s_cbranch_execnz .LBB21_276
.LBB21_272:
	s_or_b64 exec, exec, s[0:1]
	v_cmp_lt_i32_e32 vcc, v10, v11
	s_and_saveexec_b64 s[0:1], vcc
	s_cbranch_execnz .LBB21_277
	s_branch .LBB21_280
.LBB21_273:
	s_movk_i32 s4, 0x1ff
	v_mul_lo_u32 v10, v9, s4
	v_lshrrev_b32_e32 v11, 9, v10
	v_lshl_add_u32 v10, v11, 2, v5
	ds_read_b32 v10, v10 offset:1024
	v_add_u32_e32 v12, 1, v11
	s_waitcnt lgkmcnt(0)
	v_cmp_lt_i32_e32 vcc, v10, v8
	v_cndmask_b32_e32 v10, 0, v12, vcc
	v_cndmask_b32_e32 v11, v11, v9, vcc
	s_or_b64 exec, exec, s[0:1]
	v_cmp_lt_i32_e32 vcc, v10, v11
	s_and_saveexec_b64 s[0:1], vcc
	s_cbranch_execz .LBB21_270
.LBB21_274:
	v_sub_u32_e32 v12, v10, v11
	v_lshl_add_u32 v12, v11, 7, v12
	v_ashrrev_i32_e32 v12, 7, v12
	v_lshl_add_u32 v13, v12, 2, v5
	ds_read_b32 v13, v13 offset:1024
	v_add_u32_e32 v14, 1, v12
	s_waitcnt lgkmcnt(0)
	v_cmp_lt_i32_e32 vcc, v13, v8
	v_cndmask_b32_e32 v10, v10, v14, vcc
	v_cndmask_b32_e32 v11, v12, v11, vcc
	s_or_b64 exec, exec, s[0:1]
	v_cmp_lt_i32_e32 vcc, v10, v11
	s_and_saveexec_b64 s[0:1], vcc
	s_cbranch_execz .LBB21_271
.LBB21_275:
	v_sub_u32_e32 v12, v10, v11
	v_lshl_add_u32 v12, v11, 5, v12
	v_ashrrev_i32_e32 v12, 5, v12
	v_lshl_add_u32 v13, v12, 2, v5
	ds_read_b32 v13, v13 offset:1024
	v_add_u32_e32 v14, 1, v12
	s_waitcnt lgkmcnt(0)
	v_cmp_lt_i32_e32 vcc, v13, v8
	v_cndmask_b32_e32 v10, v10, v14, vcc
	v_cndmask_b32_e32 v11, v12, v11, vcc
	s_or_b64 exec, exec, s[0:1]
	v_cmp_lt_i32_e32 vcc, v10, v11
	s_and_saveexec_b64 s[0:1], vcc
	s_cbranch_execz .LBB21_272
.LBB21_276:
	v_sub_u32_e32 v12, v10, v11
	v_lshl_add_u32 v12, v11, 4, v12
	v_ashrrev_i32_e32 v12, 4, v12
	v_lshl_add_u32 v13, v12, 2, v5
	ds_read_b32 v13, v13 offset:1024
	v_add_u32_e32 v14, 1, v12
	s_waitcnt lgkmcnt(0)
	v_cmp_lt_i32_e32 vcc, v13, v8
	v_cndmask_b32_e32 v10, v10, v14, vcc
	v_cndmask_b32_e32 v11, v12, v11, vcc
	s_or_b64 exec, exec, s[0:1]
	v_cmp_lt_i32_e32 vcc, v10, v11
	s_and_saveexec_b64 s[0:1], vcc
	s_cbranch_execz .LBB21_280
.LBB21_277:
	s_mov_b64 s[4:5], 0
.LBB21_278:                             ; =>This Inner Loop Header: Depth=1
	v_sub_u32_e32 v12, v10, v11
	v_lshl_add_u32 v12, v11, 1, v12
	v_ashrrev_i32_e32 v12, 1, v12
	v_lshl_add_u32 v13, v12, 2, v5
	ds_read_b32 v13, v13 offset:1024
	v_add_u32_e32 v14, 1, v12
	s_waitcnt lgkmcnt(0)
	v_cmp_lt_i32_e32 vcc, v13, v8
	v_cndmask_b32_e32 v10, v10, v14, vcc
	v_cndmask_b32_e32 v11, v12, v11, vcc
	v_cmp_ge_i32_e32 vcc, v10, v11
	s_or_b64 s[4:5], vcc, s[4:5]
	s_andn2_b64 exec, exec, s[4:5]
	s_cbranch_execnz .LBB21_278
; %bb.279:
	s_or_b64 exec, exec, s[4:5]
.LBB21_280:
	s_or_b64 exec, exec, s[0:1]
	v_sub_u32_e32 v2, v2, v6
	v_sub_u32_e32 v12, v9, v10
	v_add_u32_e32 v11, v12, v2
	v_ashrrev_i32_e32 v2, 1, v11
	v_max_i32_e32 v2, v2, v12
	v_add3_u32 v10, v10, v2, 1
	v_min_i32_e32 v10, v10, v19
	v_sub_u32_e32 v10, v10, v9
	v_mov_b32_e32 v9, 0
	v_cmp_lt_i32_e32 vcc, 0, v10
	s_and_saveexec_b64 s[0:1], vcc
	s_cbranch_execz .LBB21_284
; %bb.281:
	v_mov_b32_e32 v9, 0
	s_mov_b64 s[4:5], 0
.LBB21_282:                             ; =>This Inner Loop Header: Depth=1
	v_add_u32_e32 v13, v9, v10
	v_lshrrev_b32_e32 v13, 1, v13
	v_lshl_add_u32 v14, v13, 2, v7
	ds_read_b32 v14, v14 offset:1024
	v_add_u32_e32 v15, 1, v13
	s_waitcnt lgkmcnt(0)
	v_cmp_lt_i32_e32 vcc, v8, v14
	v_cndmask_b32_e32 v9, v15, v9, vcc
	v_cndmask_b32_e32 v10, v10, v13, vcc
	v_cmp_ge_i32_e32 vcc, v9, v10
	s_or_b64 s[4:5], vcc, s[4:5]
	s_andn2_b64 exec, exec, s[4:5]
	s_cbranch_execnz .LBB21_282
; %bb.283:
	s_or_b64 exec, exec, s[4:5]
.LBB21_284:
	s_or_b64 exec, exec, s[0:1]
	v_add_u32_e32 v7, v9, v12
	s_waitcnt lgkmcnt(0)
	v_min_i32_e32 v8, v7, v2
	v_sub_u32_e32 v9, v11, v8
	v_add_u32_e32 v8, 1, v8
	v_cmp_eq_u32_e32 vcc, v9, v8
	v_cmp_lt_i32_e64 s[0:1], v2, v7
	s_and_b64 s[0:1], s[0:1], vcc
	v_cndmask_b32_e64 v7, 0, 1, s[0:1]
	v_add_u32_e32 v2, v9, v6
.LBB21_285:
	s_or_b64 exec, exec, s[2:3]
	v_add_u32_e32 v3, v7, v3
	v_sub_u32_e32 v6, v3, v2
	v_lshlrev_b32_e32 v7, 16, v18
	v_or_b32_e32 v7, v7, v19
	v_lshl_or_b32 v8, v2, 16, v6
	v_subrev_co_u32_e64 v9, s[2:3], 1, v0
	v_cndmask_b32_e64 v7, v8, v7, s[2:3]
	v_mov_b32_e32 v8, 0xff
	v_cndmask_b32_e64 v8, v9, v8, s[2:3]
	v_lshlrev_b32_e32 v8, 2, v8
	ds_write_b32 v8, v7
	s_waitcnt lgkmcnt(0)
	s_barrier
	v_lshlrev_b32_e32 v7, 2, v2
	v_lshl_add_u32 v5, v6, 2, v5
	ds_read_b32 v19, v4
	ds_read_b32 v21, v7 offset:1024
	ds_read_b32 v22, v5 offset:1024
	s_waitcnt lgkmcnt(2)
	v_cmp_le_i32_sdwa s[6:7], v19, v6 src0_sel:WORD_0 src1_sel:DWORD
	v_cmp_le_i32_sdwa s[4:5], sext(v19), v2 src0_sel:WORD_1 src1_sel:DWORD
	s_waitcnt lgkmcnt(0)
	v_cmp_lt_i32_e32 vcc, v22, v21
	v_cndmask_b32_e64 v4, 0, 1, vcc
	v_cndmask_b32_e64 v8, 0, 1, s[4:5]
	s_or_b64 vcc, s[4:5], s[6:7]
	v_cndmask_b32_e32 v4, v4, v8, vcc
	v_and_b32_e32 v4, 1, v4
	v_cmp_eq_u32_e64 s[0:1], 1, v4
	s_xor_b64 s[10:11], s[0:1], -1
	v_mov_b32_e32 v23, v21
	s_and_saveexec_b64 s[8:9], s[10:11]
; %bb.286:
	ds_read_b32 v23, v7 offset:1028
	v_add_u32_e32 v2, 1, v2
; %bb.287:
	s_or_b64 exec, exec, s[8:9]
	s_xor_b64 s[8:9], s[4:5], -1
	v_cmp_lt_i32_e64 s[4:5], v21, v22
	v_add_u32_e32 v4, v6, v18
	v_cndmask_b32_e64 v6, 0, 1, s[4:5]
	s_and_b64 s[4:5], s[6:7], s[8:9]
	v_cndmask_b32_e64 v7, 0, 1, s[4:5]
	v_cndmask_b32_e32 v6, v6, v7, vcc
	v_and_b32_e32 v6, 1, v6
	v_cmp_eq_u32_e32 vcc, 1, v6
	s_xor_b64 s[6:7], vcc, -1
	v_mov_b32_e32 v24, v22
	s_and_saveexec_b64 s[4:5], s[6:7]
; %bb.288:
	ds_read_b32 v24, v5 offset:1028
	v_add_u32_e32 v4, 1, v4
; %bb.289:
	s_or_b64 exec, exec, s[4:5]
	v_add_u32_sdwa v20, v19, v18 dst_sel:DWORD dst_unused:UNUSED_PAD src0_sel:WORD_0 src1_sel:DWORD
	v_cmp_ge_i32_e32 vcc, v4, v20
	v_cmp_ge_i32_sdwa s[8:9], v2, sext(v19) src0_sel:DWORD src1_sel:WORD_1
	s_waitcnt lgkmcnt(0)
	v_cmp_lt_i32_e64 s[4:5], v24, v23
	v_cndmask_b32_e64 v5, 0, 1, s[8:9]
	v_cndmask_b32_e64 v6, 0, 1, s[4:5]
	s_or_b64 s[4:5], s[8:9], vcc
	v_cndmask_b32_e64 v5, v6, v5, s[4:5]
	v_and_b32_e32 v5, 1, v5
	v_cmp_eq_u32_e64 s[4:5], 1, v5
	s_xor_b64 s[10:11], s[4:5], -1
	v_mov_b32_e32 v25, v23
	v_mov_b32_e32 v5, v2
	s_and_saveexec_b64 s[6:7], s[10:11]
; %bb.290:
	v_lshlrev_b32_e32 v5, 2, v2
	ds_read_b32 v25, v5 offset:1028
	v_add_u32_e32 v5, 1, v2
; %bb.291:
	s_or_b64 exec, exec, s[6:7]
	v_cmp_lt_i32_e64 s[6:7], v23, v24
	s_or_b64 s[6:7], vcc, s[6:7]
	s_xor_b64 s[8:9], s[8:9], -1
	s_and_b64 s[6:7], s[8:9], s[6:7]
	s_xor_b64 s[8:9], s[6:7], -1
	v_mov_b32_e32 v26, v24
	v_mov_b32_e32 v6, v4
	s_and_saveexec_b64 s[6:7], s[8:9]
; %bb.292:
	v_lshlrev_b32_e32 v6, 2, v4
	ds_read_b32 v26, v6 offset:1028
	v_add_u32_e32 v6, 1, v4
; %bb.293:
	s_or_b64 exec, exec, s[6:7]
	v_cmp_ge_i32_e32 vcc, v6, v20
	v_cmp_ge_i32_sdwa s[10:11], v5, sext(v19) src0_sel:DWORD src1_sel:WORD_1
	s_waitcnt lgkmcnt(0)
	v_cmp_lt_i32_e64 s[6:7], v26, v25
	v_cndmask_b32_e64 v7, 0, 1, s[10:11]
	v_cndmask_b32_e64 v8, 0, 1, s[6:7]
	s_or_b64 s[6:7], s[10:11], vcc
	v_cndmask_b32_e64 v7, v8, v7, s[6:7]
	v_and_b32_e32 v7, 1, v7
	v_cmp_eq_u32_e64 s[6:7], 1, v7
	s_xor_b64 s[12:13], s[6:7], -1
	v_mov_b32_e32 v27, v25
	v_mov_b32_e32 v7, v5
	s_and_saveexec_b64 s[8:9], s[12:13]
; %bb.294:
	v_lshlrev_b32_e32 v7, 2, v5
	ds_read_b32 v27, v7 offset:1028
	v_add_u32_e32 v7, 1, v5
; %bb.295:
	s_or_b64 exec, exec, s[8:9]
	v_cmp_lt_i32_e64 s[8:9], v25, v26
	s_or_b64 s[8:9], vcc, s[8:9]
	s_xor_b64 s[10:11], s[10:11], -1
	s_and_b64 s[8:9], s[10:11], s[8:9]
	s_xor_b64 s[10:11], s[8:9], -1
	v_mov_b32_e32 v28, v26
	v_mov_b32_e32 v8, v6
	s_and_saveexec_b64 s[8:9], s[10:11]
; %bb.296:
	v_lshlrev_b32_e32 v8, 2, v6
	ds_read_b32 v28, v8 offset:1028
	v_add_u32_e32 v8, 1, v6
; %bb.297:
	s_or_b64 exec, exec, s[8:9]
	;; [unrolled: 34-line block ×14, first 2 shown]
	v_add_u32_e32 v68, v54, v52
	v_add_u32_sdwa v69, v20, sext(v19) dst_sel:DWORD dst_unused:UNUSED_PAD src0_sel:DWORD src1_sel:WORD_1
	v_mov_b32_e32 v70, 0x8000
	v_cmp_lt_i32_e32 vcc, v68, v69
	v_add_u32_e32 v66, v67, v66
	v_cndmask_b32_e32 v68, 0, v70, vcc
	v_mov_b32_e32 v67, 0x4000
	v_cmp_lt_i32_e32 vcc, v66, v69
	v_add_u32_e32 v64, v65, v64
	v_cndmask_b32_e32 v66, 0, v67, vcc
	;; [unrolled: 4-line block ×6, first 2 shown]
	v_mov_b32_e32 v57, 0x200
	v_cmp_lt_i32_e32 vcc, v56, v69
	v_add_u32_e32 v17, v55, v17
	v_add_u32_e32 v5, v6, v5
	;; [unrolled: 1-line block ×4, first 2 shown]
	v_cndmask_b32_e32 v56, 0, v57, vcc
	v_mov_b32_e32 v55, 0x100
	v_cmp_lt_i32_e32 vcc, v17, v69
	v_add_u32_e32 v15, v16, v15
	v_add_u32_e32 v9, v10, v9
	;; [unrolled: 1-line block ×3, first 2 shown]
	v_cmp_lt_i32_e64 s[40:41], v5, v69
	v_cmp_lt_i32_e64 s[42:43], v2, v69
	;; [unrolled: 1-line block ×3, first 2 shown]
	v_cndmask_b32_e32 v17, 0, v55, vcc
	v_mov_b32_e32 v16, 0x80
	v_cmp_lt_i32_e32 vcc, v15, v69
	v_add_u32_e32 v13, v14, v13
	v_add_u32_e32 v11, v12, v11
	v_cmp_lt_i32_e64 s[36:37], v9, v69
	v_cmp_lt_i32_e64 s[38:39], v7, v69
	v_cndmask_b32_e64 v5, 0, 4, s[40:41]
	v_cndmask_b32_e64 v2, 0, 2, s[42:43]
	v_cndmask_b32_e64 v3, 0, 1, s[44:45]
	v_cndmask_b32_e32 v15, 0, v16, vcc
	v_cmp_lt_i32_e32 vcc, v13, v69
	v_cmp_lt_i32_e64 s[34:35], v11, v69
	v_cndmask_b32_e64 v9, 0, 16, s[36:37]
	v_cndmask_b32_e64 v7, 0, 8, s[38:39]
	v_or3_b32 v2, v2, v3, v5
	v_cndmask_b32_e64 v13, 0, 64, vcc
	v_cndmask_b32_e64 v11, 0, 32, s[34:35]
	v_or3_b32 v2, v2, v7, v9
	v_or3_b32 v60, v2, v11, v13
	v_or_b32_e32 v59, v15, v60
	v_or3_b32 v58, v17, v56, v59
	v_or3_b32 v57, v63, v61, v58
	;; [unrolled: 1-line block ×4, first 2 shown]
	v_bcnt_u32_b32 v10, v55, 0
	v_mov_b32_e32 v11, 0
	s_cmp_lg_u32 s56, 0
	v_mbcnt_lo_u32_b32 v61, -1, 0
	s_waitcnt lgkmcnt(0)
	s_barrier
	s_cbranch_scc0 .LBB21_399
; %bb.346:
	v_mbcnt_hi_u32_b32 v17, -1, v61
	v_and_b32_e32 v7, 15, v17
	v_mov_b32_e32 v4, v10
	v_mov_b32_dpp v2, v10 row_shr:1 row_mask:0xf bank_mask:0xf
	v_mov_b32_dpp v8, v11 row_shr:1 row_mask:0xf bank_mask:0xf
	v_cmp_ne_u32_e32 vcc, 0, v7
	v_mov_b32_e32 v6, v10
	v_mov_b32_e32 v3, v11
	;; [unrolled: 1-line block ×3, first 2 shown]
	s_and_saveexec_b64 s[46:47], vcc
; %bb.347:
	v_add_co_u32_e32 v6, vcc, v2, v10
	v_addc_co_u32_e64 v3, s[48:49], 0, 0, vcc
	v_add_co_u32_e32 v2, vcc, 0, v6
	v_addc_co_u32_e32 v3, vcc, v8, v3, vcc
	v_mov_b32_e32 v5, v3
	v_mov_b32_e32 v4, v2
; %bb.348:
	s_or_b64 exec, exec, s[46:47]
	v_mov_b32_dpp v2, v6 row_shr:2 row_mask:0xf bank_mask:0xf
	v_mov_b32_dpp v8, v3 row_shr:2 row_mask:0xf bank_mask:0xf
	v_cmp_lt_u32_e32 vcc, 1, v7
	s_and_saveexec_b64 s[46:47], vcc
; %bb.349:
	v_add_co_u32_e32 v6, vcc, v4, v2
	v_addc_co_u32_e32 v3, vcc, 0, v5, vcc
	v_add_co_u32_e32 v2, vcc, 0, v6
	v_addc_co_u32_e32 v3, vcc, v8, v3, vcc
	v_mov_b32_e32 v5, v3
	v_mov_b32_e32 v4, v2
; %bb.350:
	s_or_b64 exec, exec, s[46:47]
	v_mov_b32_dpp v2, v6 row_shr:4 row_mask:0xf bank_mask:0xf
	v_mov_b32_dpp v8, v3 row_shr:4 row_mask:0xf bank_mask:0xf
	v_cmp_lt_u32_e32 vcc, 3, v7
	s_and_saveexec_b64 s[46:47], vcc
; %bb.351:
	v_add_co_u32_e32 v6, vcc, v4, v2
	v_addc_co_u32_e32 v3, vcc, 0, v5, vcc
	;; [unrolled: 13-line block ×3, first 2 shown]
	v_add_co_u32_e32 v2, vcc, 0, v6
	v_addc_co_u32_e32 v3, vcc, v8, v3, vcc
	v_mov_b32_e32 v5, v3
	v_mov_b32_e32 v4, v2
; %bb.354:
	s_or_b64 exec, exec, s[46:47]
	v_and_b32_e32 v8, 16, v17
	v_mov_b32_dpp v2, v6 row_bcast:15 row_mask:0xf bank_mask:0xf
	v_mov_b32_dpp v7, v3 row_bcast:15 row_mask:0xf bank_mask:0xf
	v_cmp_ne_u32_e32 vcc, 0, v8
	s_and_saveexec_b64 s[46:47], vcc
; %bb.355:
	v_add_co_u32_e32 v6, vcc, v4, v2
	v_addc_co_u32_e32 v3, vcc, 0, v5, vcc
	v_add_co_u32_e32 v2, vcc, 0, v6
	v_addc_co_u32_e32 v3, vcc, v7, v3, vcc
	v_mov_b32_e32 v5, v3
	v_mov_b32_e32 v4, v2
; %bb.356:
	s_or_b64 exec, exec, s[46:47]
	v_mov_b32_dpp v8, v6 row_bcast:31 row_mask:0xf bank_mask:0xf
	v_add_co_u32_e64 v8, s[46:47], v4, v8
	v_mov_b32_dpp v2, v3 row_bcast:31 row_mask:0xf bank_mask:0xf
	v_addc_co_u32_e64 v3, s[46:47], 0, v5, s[46:47]
	v_or_b32_e32 v9, 63, v0
	v_lshrrev_b32_e32 v7, 6, v0
	v_cmp_lt_u32_e32 vcc, 31, v17
	v_cmp_eq_u32_e64 s[46:47], v0, v9
	s_and_saveexec_b64 s[48:49], s[46:47]
	s_cbranch_execz .LBB21_358
; %bb.357:
	v_add_co_u32_e64 v12, s[46:47], 0, v8
	v_addc_co_u32_e64 v2, s[46:47], v2, v3, s[46:47]
	v_lshlrev_b32_e32 v9, 3, v7
	v_cndmask_b32_e32 v3, v5, v2, vcc
	v_cndmask_b32_e32 v2, v4, v12, vcc
	ds_write_b64 v9, v[2:3]
.LBB21_358:
	s_or_b64 exec, exec, s[48:49]
	v_cmp_gt_u32_e64 s[46:47], 4, v0
	s_waitcnt lgkmcnt(0)
	s_barrier
	s_and_saveexec_b64 s[48:49], s[46:47]
	s_cbranch_execz .LBB21_362
; %bb.359:
	v_lshlrev_b32_e32 v4, 3, v0
	ds_read_b64 v[2:3], v4
	v_and_b32_e32 v5, 3, v17
	v_cmp_ne_u32_e64 s[46:47], 0, v5
	s_waitcnt lgkmcnt(0)
	v_mov_b32_dpp v13, v2 row_shr:1 row_mask:0xf bank_mask:0xf
	v_mov_b32_dpp v12, v3 row_shr:1 row_mask:0xf bank_mask:0xf
	v_mov_b32_e32 v9, v2
	s_and_saveexec_b64 s[50:51], s[46:47]
; %bb.360:
	v_add_co_u32_e64 v9, s[46:47], v2, v13
	v_addc_co_u32_e64 v3, s[46:47], 0, v3, s[46:47]
	v_add_co_u32_e64 v2, s[46:47], 0, v9
	v_addc_co_u32_e64 v3, s[46:47], v12, v3, s[46:47]
; %bb.361:
	s_or_b64 exec, exec, s[50:51]
	v_mov_b32_dpp v9, v9 row_shr:2 row_mask:0xf bank_mask:0xf
	v_add_co_u32_e64 v9, s[46:47], v2, v9
	v_addc_co_u32_e64 v13, s[46:47], 0, v3, s[46:47]
	v_mov_b32_dpp v12, v3 row_shr:2 row_mask:0xf bank_mask:0xf
	v_add_co_u32_e64 v9, s[46:47], 0, v9
	v_addc_co_u32_e64 v12, s[46:47], v13, v12, s[46:47]
	v_cmp_lt_u32_e64 s[46:47], 1, v5
	v_cndmask_b32_e64 v3, v3, v12, s[46:47]
	v_cndmask_b32_e64 v2, v2, v9, s[46:47]
	ds_write_b64 v4, v[2:3]
.LBB21_362:
	s_or_b64 exec, exec, s[48:49]
	v_cndmask_b32_e32 v2, v6, v8, vcc
	v_cmp_gt_u32_e32 vcc, 64, v0
	v_cmp_lt_u32_e64 s[46:47], 63, v0
	s_waitcnt lgkmcnt(0)
	s_barrier
                                        ; implicit-def: $vgpr12_vgpr13
	s_and_saveexec_b64 s[48:49], s[46:47]
	s_cbranch_execz .LBB21_364
; %bb.363:
	v_lshl_add_u32 v3, v7, 3, -8
	ds_read_b64 v[12:13], v3
	s_waitcnt lgkmcnt(0)
	v_add_u32_e32 v2, v2, v12
.LBB21_364:
	s_or_b64 exec, exec, s[48:49]
	v_subrev_co_u32_e64 v3, s[46:47], 1, v17
	v_and_b32_e32 v4, 64, v17
	v_cmp_lt_i32_e64 s[48:49], v3, v4
	v_cndmask_b32_e64 v3, v3, v17, s[48:49]
	v_lshlrev_b32_e32 v3, 2, v3
	ds_bpermute_b32 v62, v3, v2
	s_and_saveexec_b64 s[48:49], vcc
	s_cbranch_execz .LBB21_404
; %bb.365:
	v_mov_b32_e32 v5, 0
	ds_read_b64 v[2:3], v5 offset:24
	s_and_saveexec_b64 s[50:51], s[46:47]
	s_cbranch_execz .LBB21_367
; %bb.366:
	s_add_i32 s58, s56, 64
	s_mov_b32 s59, 0
	s_lshl_b64 s[58:59], s[58:59], 4
	s_add_u32 s58, s52, s58
	s_addc_u32 s59, s53, s59
	v_mov_b32_e32 v6, s58
	v_mov_b32_e32 v4, 1
	;; [unrolled: 1-line block ×3, first 2 shown]
	s_waitcnt lgkmcnt(0)
	;;#ASMSTART
	global_store_dwordx4 v[6:7], v[2:5] off	
s_waitcnt vmcnt(0)
	;;#ASMEND
.LBB21_367:
	s_or_b64 exec, exec, s[50:51]
	v_xad_u32 v13, v17, -1, s56
	v_add_u32_e32 v4, 64, v13
	v_lshlrev_b64 v[6:7], 4, v[4:5]
	v_mov_b32_e32 v4, s53
	v_add_co_u32_e32 v14, vcc, s52, v6
	v_addc_co_u32_e32 v15, vcc, v4, v7, vcc
	;;#ASMSTART
	global_load_dwordx4 v[6:9], v[14:15] off glc	
s_waitcnt vmcnt(0)
	;;#ASMEND
	v_cmp_eq_u16_sdwa s[58:59], v8, v5 src0_sel:BYTE_0 src1_sel:DWORD
	s_and_saveexec_b64 s[50:51], s[58:59]
	s_cbranch_execz .LBB21_371
; %bb.368:
	s_mov_b64 s[58:59], 0
	v_mov_b32_e32 v4, 0
.LBB21_369:                             ; =>This Inner Loop Header: Depth=1
	;;#ASMSTART
	global_load_dwordx4 v[6:9], v[14:15] off glc	
s_waitcnt vmcnt(0)
	;;#ASMEND
	v_cmp_ne_u16_sdwa s[60:61], v8, v4 src0_sel:BYTE_0 src1_sel:DWORD
	s_or_b64 s[58:59], s[60:61], s[58:59]
	s_andn2_b64 exec, exec, s[58:59]
	s_cbranch_execnz .LBB21_369
; %bb.370:
	s_or_b64 exec, exec, s[58:59]
.LBB21_371:
	s_or_b64 exec, exec, s[50:51]
	v_and_b32_e32 v63, 63, v17
	v_mov_b32_e32 v4, 2
	v_lshlrev_b64 v[15:16], v17, -1
	v_cmp_ne_u32_e32 vcc, 63, v63
	v_cmp_eq_u16_sdwa s[50:51], v8, v4 src0_sel:BYTE_0 src1_sel:DWORD
	v_addc_co_u32_e32 v9, vcc, 0, v17, vcc
	v_and_b32_e32 v4, s51, v16
	v_lshlrev_b32_e32 v64, 2, v9
	v_or_b32_e32 v4, 0x80000000, v4
	ds_bpermute_b32 v14, v64, v6
	ds_bpermute_b32 v9, v64, v7
	v_and_b32_e32 v5, s50, v15
	v_ffbl_b32_e32 v4, v4
	v_add_u32_e32 v4, 32, v4
	v_ffbl_b32_e32 v5, v5
	v_min_u32_e32 v4, v5, v4
	v_cmp_lt_u32_e32 vcc, v63, v4
	v_mov_b32_e32 v5, v6
	s_and_saveexec_b64 s[50:51], vcc
	s_cbranch_execz .LBB21_373
; %bb.372:
	s_waitcnt lgkmcnt(1)
	v_add_co_u32_e32 v5, vcc, v6, v14
	v_addc_co_u32_e32 v7, vcc, 0, v7, vcc
	v_add_co_u32_e32 v6, vcc, 0, v5
	s_waitcnt lgkmcnt(0)
	v_addc_co_u32_e32 v7, vcc, v9, v7, vcc
.LBB21_373:
	s_or_b64 exec, exec, s[50:51]
	v_cmp_gt_u32_e32 vcc, 62, v63
	s_waitcnt lgkmcnt(0)
	v_cndmask_b32_e64 v9, 0, 2, vcc
	v_add_lshl_u32 v65, v9, v17, 2
	ds_bpermute_b32 v14, v65, v5
	ds_bpermute_b32 v9, v65, v7
	v_add_u32_e32 v66, 2, v63
	v_cmp_le_u32_e32 vcc, v66, v4
	s_and_saveexec_b64 s[50:51], vcc
	s_cbranch_execz .LBB21_375
; %bb.374:
	s_waitcnt lgkmcnt(1)
	v_add_co_u32_e32 v5, vcc, v6, v14
	v_addc_co_u32_e32 v7, vcc, 0, v7, vcc
	v_add_co_u32_e32 v6, vcc, 0, v5
	s_waitcnt lgkmcnt(0)
	v_addc_co_u32_e32 v7, vcc, v9, v7, vcc
.LBB21_375:
	s_or_b64 exec, exec, s[50:51]
	v_cmp_gt_u32_e32 vcc, 60, v63
	s_waitcnt lgkmcnt(0)
	v_cndmask_b32_e64 v9, 0, 4, vcc
	v_add_lshl_u32 v67, v9, v17, 2
	ds_bpermute_b32 v14, v67, v5
	ds_bpermute_b32 v9, v67, v7
	v_add_u32_e32 v68, 4, v63
	v_cmp_le_u32_e32 vcc, v68, v4
	s_and_saveexec_b64 s[50:51], vcc
	s_cbranch_execz .LBB21_377
; %bb.376:
	s_waitcnt lgkmcnt(1)
	v_add_co_u32_e32 v5, vcc, v6, v14
	v_addc_co_u32_e32 v7, vcc, 0, v7, vcc
	v_add_co_u32_e32 v6, vcc, 0, v5
	s_waitcnt lgkmcnt(0)
	v_addc_co_u32_e32 v7, vcc, v9, v7, vcc
.LBB21_377:
	s_or_b64 exec, exec, s[50:51]
	v_cmp_gt_u32_e32 vcc, 56, v63
	s_waitcnt lgkmcnt(0)
	v_cndmask_b32_e64 v9, 0, 8, vcc
	v_add_lshl_u32 v69, v9, v17, 2
	ds_bpermute_b32 v14, v69, v5
	ds_bpermute_b32 v9, v69, v7
	v_add_u32_e32 v70, 8, v63
	v_cmp_le_u32_e32 vcc, v70, v4
	s_and_saveexec_b64 s[50:51], vcc
	s_cbranch_execz .LBB21_379
; %bb.378:
	s_waitcnt lgkmcnt(1)
	v_add_co_u32_e32 v5, vcc, v6, v14
	v_addc_co_u32_e32 v7, vcc, 0, v7, vcc
	v_add_co_u32_e32 v6, vcc, 0, v5
	s_waitcnt lgkmcnt(0)
	v_addc_co_u32_e32 v7, vcc, v9, v7, vcc
.LBB21_379:
	s_or_b64 exec, exec, s[50:51]
	v_cmp_gt_u32_e32 vcc, 48, v63
	s_waitcnt lgkmcnt(0)
	v_cndmask_b32_e64 v9, 0, 16, vcc
	v_add_lshl_u32 v71, v9, v17, 2
	ds_bpermute_b32 v14, v71, v5
	ds_bpermute_b32 v9, v71, v7
	v_add_u32_e32 v72, 16, v63
	v_cmp_le_u32_e32 vcc, v72, v4
	s_and_saveexec_b64 s[50:51], vcc
	s_cbranch_execz .LBB21_381
; %bb.380:
	s_waitcnt lgkmcnt(1)
	v_add_co_u32_e32 v5, vcc, v6, v14
	v_addc_co_u32_e32 v7, vcc, 0, v7, vcc
	v_add_co_u32_e32 v6, vcc, 0, v5
	s_waitcnt lgkmcnt(0)
	v_addc_co_u32_e32 v7, vcc, v9, v7, vcc
.LBB21_381:
	s_or_b64 exec, exec, s[50:51]
	s_waitcnt lgkmcnt(0)
	v_mov_b32_e32 v9, 0x80
	v_lshl_or_b32 v73, v17, 2, v9
	ds_bpermute_b32 v5, v73, v5
	ds_bpermute_b32 v9, v73, v7
	v_add_u32_e32 v74, 32, v63
	v_mov_b32_e32 v14, 0
	v_mov_b32_e32 v75, 2
	s_waitcnt lgkmcnt(1)
	v_add_co_u32_e32 v5, vcc, v6, v5
	v_addc_co_u32_e32 v17, vcc, 0, v7, vcc
	v_add_co_u32_e32 v5, vcc, 0, v5
	s_waitcnt lgkmcnt(0)
	v_addc_co_u32_e32 v9, vcc, v17, v9, vcc
	v_cmp_gt_u32_e32 vcc, v74, v4
	v_cndmask_b32_e32 v7, v9, v7, vcc
	v_cndmask_b32_e32 v6, v5, v6, vcc
	s_branch .LBB21_384
.LBB21_382:                             ;   in Loop: Header=BB21_384 Depth=1
	s_or_b64 exec, exec, s[50:51]
	ds_bpermute_b32 v17, v73, v17
	s_waitcnt lgkmcnt(1)
	ds_bpermute_b32 v18, v73, v7
	v_subrev_u32_e32 v13, 64, v13
	s_mov_b64 s[50:51], 0
	s_waitcnt lgkmcnt(1)
	v_add_co_u32_e32 v17, vcc, v6, v17
	v_addc_co_u32_e32 v76, vcc, 0, v7, vcc
	v_add_co_u32_e32 v17, vcc, 0, v17
	s_waitcnt lgkmcnt(0)
	v_addc_co_u32_e32 v18, vcc, v76, v18, vcc
	v_cmp_gt_u32_e32 vcc, v74, v9
	v_cndmask_b32_e32 v6, v17, v6, vcc
	v_cndmask_b32_e32 v7, v18, v7, vcc
	v_add_co_u32_e32 v6, vcc, v6, v4
	v_addc_co_u32_e32 v7, vcc, v7, v5, vcc
.LBB21_383:                             ;   in Loop: Header=BB21_384 Depth=1
	s_and_b64 vcc, exec, s[50:51]
	s_cbranch_vccnz .LBB21_400
.LBB21_384:                             ; =>This Loop Header: Depth=1
                                        ;     Child Loop BB21_387 Depth 2
	v_mov_b32_e32 v4, v6
	v_cmp_ne_u16_sdwa s[50:51], v8, v75 src0_sel:BYTE_0 src1_sel:DWORD
	v_mov_b32_e32 v5, v7
	s_cmp_lg_u64 s[50:51], exec
	s_mov_b64 s[50:51], -1
                                        ; implicit-def: $vgpr6_vgpr7
                                        ; implicit-def: $vgpr8
	s_cbranch_scc1 .LBB21_383
; %bb.385:                              ;   in Loop: Header=BB21_384 Depth=1
	v_lshlrev_b64 v[6:7], 4, v[13:14]
	v_mov_b32_e32 v8, s53
	v_add_co_u32_e32 v17, vcc, s52, v6
	v_addc_co_u32_e32 v18, vcc, v8, v7, vcc
	;;#ASMSTART
	global_load_dwordx4 v[6:9], v[17:18] off glc	
s_waitcnt vmcnt(0)
	;;#ASMEND
	v_cmp_eq_u16_sdwa s[58:59], v8, v14 src0_sel:BYTE_0 src1_sel:DWORD
	s_and_saveexec_b64 s[50:51], s[58:59]
	s_cbranch_execz .LBB21_389
; %bb.386:                              ;   in Loop: Header=BB21_384 Depth=1
	s_mov_b64 s[58:59], 0
.LBB21_387:                             ;   Parent Loop BB21_384 Depth=1
                                        ; =>  This Inner Loop Header: Depth=2
	;;#ASMSTART
	global_load_dwordx4 v[6:9], v[17:18] off glc	
s_waitcnt vmcnt(0)
	;;#ASMEND
	v_cmp_ne_u16_sdwa s[60:61], v8, v14 src0_sel:BYTE_0 src1_sel:DWORD
	s_or_b64 s[58:59], s[60:61], s[58:59]
	s_andn2_b64 exec, exec, s[58:59]
	s_cbranch_execnz .LBB21_387
; %bb.388:                              ;   in Loop: Header=BB21_384 Depth=1
	s_or_b64 exec, exec, s[58:59]
.LBB21_389:                             ;   in Loop: Header=BB21_384 Depth=1
	s_or_b64 exec, exec, s[50:51]
	v_cmp_eq_u16_sdwa s[50:51], v8, v75 src0_sel:BYTE_0 src1_sel:DWORD
	v_and_b32_e32 v9, s51, v16
	v_or_b32_e32 v9, 0x80000000, v9
	ds_bpermute_b32 v76, v64, v6
	ds_bpermute_b32 v18, v64, v7
	v_and_b32_e32 v17, s50, v15
	v_ffbl_b32_e32 v9, v9
	v_add_u32_e32 v9, 32, v9
	v_ffbl_b32_e32 v17, v17
	v_min_u32_e32 v9, v17, v9
	v_cmp_lt_u32_e32 vcc, v63, v9
	v_mov_b32_e32 v17, v6
	s_and_saveexec_b64 s[50:51], vcc
	s_cbranch_execz .LBB21_391
; %bb.390:                              ;   in Loop: Header=BB21_384 Depth=1
	s_waitcnt lgkmcnt(1)
	v_add_co_u32_e32 v17, vcc, v6, v76
	v_addc_co_u32_e32 v7, vcc, 0, v7, vcc
	v_add_co_u32_e32 v6, vcc, 0, v17
	s_waitcnt lgkmcnt(0)
	v_addc_co_u32_e32 v7, vcc, v18, v7, vcc
.LBB21_391:                             ;   in Loop: Header=BB21_384 Depth=1
	s_or_b64 exec, exec, s[50:51]
	s_waitcnt lgkmcnt(1)
	ds_bpermute_b32 v76, v65, v17
	s_waitcnt lgkmcnt(1)
	ds_bpermute_b32 v18, v65, v7
	v_cmp_le_u32_e32 vcc, v66, v9
	s_and_saveexec_b64 s[50:51], vcc
	s_cbranch_execz .LBB21_393
; %bb.392:                              ;   in Loop: Header=BB21_384 Depth=1
	s_waitcnt lgkmcnt(1)
	v_add_co_u32_e32 v17, vcc, v6, v76
	v_addc_co_u32_e32 v7, vcc, 0, v7, vcc
	v_add_co_u32_e32 v6, vcc, 0, v17
	s_waitcnt lgkmcnt(0)
	v_addc_co_u32_e32 v7, vcc, v18, v7, vcc
.LBB21_393:                             ;   in Loop: Header=BB21_384 Depth=1
	s_or_b64 exec, exec, s[50:51]
	s_waitcnt lgkmcnt(1)
	ds_bpermute_b32 v76, v67, v17
	s_waitcnt lgkmcnt(1)
	ds_bpermute_b32 v18, v67, v7
	v_cmp_le_u32_e32 vcc, v68, v9
	;; [unrolled: 16-line block ×4, first 2 shown]
	s_and_saveexec_b64 s[50:51], vcc
	s_cbranch_execz .LBB21_382
; %bb.398:                              ;   in Loop: Header=BB21_384 Depth=1
	s_waitcnt lgkmcnt(1)
	v_add_co_u32_e32 v17, vcc, v6, v76
	v_addc_co_u32_e32 v7, vcc, 0, v7, vcc
	v_add_co_u32_e32 v6, vcc, 0, v17
	s_waitcnt lgkmcnt(0)
	v_addc_co_u32_e32 v7, vcc, v18, v7, vcc
	s_branch .LBB21_382
.LBB21_399:
                                        ; implicit-def: $vgpr4_vgpr5
                                        ; implicit-def: $vgpr6_vgpr7
	s_cbranch_execnz .LBB21_405
	s_branch .LBB21_426
.LBB21_400:
	s_and_saveexec_b64 s[50:51], s[46:47]
	s_cbranch_execz .LBB21_402
; %bb.401:
	s_add_i32 s56, s56, 64
	s_mov_b32 s57, 0
	s_lshl_b64 s[56:57], s[56:57], 4
	s_add_u32 s56, s52, s56
	v_add_co_u32_e32 v6, vcc, v4, v2
	s_addc_u32 s57, s53, s57
	v_mov_b32_e32 v13, s56
	v_addc_co_u32_e32 v7, vcc, v5, v3, vcc
	v_mov_b32_e32 v8, 2
	v_mov_b32_e32 v9, 0
	;; [unrolled: 1-line block ×3, first 2 shown]
	;;#ASMSTART
	global_store_dwordx4 v[13:14], v[6:9] off	
s_waitcnt vmcnt(0)
	;;#ASMEND
	ds_write_b128 v9, v[2:5] offset:32
.LBB21_402:
	s_or_b64 exec, exec, s[50:51]
	s_and_b64 exec, exec, s[2:3]
; %bb.403:
	v_mov_b32_e32 v2, 0
	ds_write_b64 v2, v[4:5] offset:24
.LBB21_404:
	s_or_b64 exec, exec, s[48:49]
	v_mov_b32_e32 v2, 0
	s_waitcnt lgkmcnt(0)
	s_barrier
	ds_read_b64 v[6:7], v2 offset:24
	s_waitcnt lgkmcnt(0)
	s_barrier
	ds_read_b128 v[2:5], v2 offset:32
	v_cndmask_b32_e64 v8, v62, v12, s[46:47]
	s_waitcnt lgkmcnt(0)
	v_cndmask_b32_e64 v3, v8, 0, s[2:3]
	v_add_co_u32_e32 v6, vcc, v6, v3
	s_branch .LBB21_426
.LBB21_405:
	v_mbcnt_hi_u32_b32 v6, -1, v61
	v_mov_b32_e32 v3, 0
	v_and_b32_e32 v7, 15, v6
	v_mov_b32_e32 v4, v10
	v_mov_b32_dpp v2, v10 row_shr:1 row_mask:0xf bank_mask:0xf
	v_mov_b32_dpp v8, v3 row_shr:1 row_mask:0xf bank_mask:0xf
	v_cmp_ne_u32_e32 vcc, 0, v7
	v_mov_b32_e32 v5, v11
	s_and_saveexec_b64 s[46:47], vcc
; %bb.406:
	v_add_co_u32_e32 v10, vcc, v2, v10
	v_addc_co_u32_e64 v3, s[48:49], 0, 0, vcc
	v_add_co_u32_e32 v2, vcc, 0, v10
	v_addc_co_u32_e32 v3, vcc, v8, v3, vcc
	v_mov_b32_e32 v5, v3
	v_mov_b32_e32 v4, v2
; %bb.407:
	s_or_b64 exec, exec, s[46:47]
	v_mov_b32_dpp v2, v10 row_shr:2 row_mask:0xf bank_mask:0xf
	v_mov_b32_dpp v8, v3 row_shr:2 row_mask:0xf bank_mask:0xf
	v_cmp_lt_u32_e32 vcc, 1, v7
	s_and_saveexec_b64 s[46:47], vcc
; %bb.408:
	v_add_co_u32_e32 v10, vcc, v4, v2
	v_addc_co_u32_e32 v3, vcc, 0, v5, vcc
	v_add_co_u32_e32 v2, vcc, 0, v10
	v_addc_co_u32_e32 v3, vcc, v8, v3, vcc
	v_mov_b32_e32 v5, v3
	v_mov_b32_e32 v4, v2
; %bb.409:
	s_or_b64 exec, exec, s[46:47]
	v_mov_b32_dpp v2, v10 row_shr:4 row_mask:0xf bank_mask:0xf
	v_mov_b32_dpp v8, v3 row_shr:4 row_mask:0xf bank_mask:0xf
	v_cmp_lt_u32_e32 vcc, 3, v7
	s_and_saveexec_b64 s[46:47], vcc
; %bb.410:
	v_add_co_u32_e32 v10, vcc, v4, v2
	v_addc_co_u32_e32 v3, vcc, 0, v5, vcc
	;; [unrolled: 13-line block ×3, first 2 shown]
	v_add_co_u32_e32 v2, vcc, 0, v10
	v_addc_co_u32_e32 v3, vcc, v8, v3, vcc
	v_mov_b32_e32 v5, v3
	v_mov_b32_e32 v4, v2
; %bb.413:
	s_or_b64 exec, exec, s[46:47]
	v_and_b32_e32 v8, 16, v6
	v_mov_b32_dpp v2, v10 row_bcast:15 row_mask:0xf bank_mask:0xf
	v_mov_b32_dpp v7, v3 row_bcast:15 row_mask:0xf bank_mask:0xf
	v_cmp_ne_u32_e32 vcc, 0, v8
	s_and_saveexec_b64 s[46:47], vcc
; %bb.414:
	v_add_co_u32_e32 v10, vcc, v4, v2
	v_addc_co_u32_e32 v3, vcc, 0, v5, vcc
	v_add_co_u32_e32 v2, vcc, 0, v10
	v_addc_co_u32_e32 v3, vcc, v7, v3, vcc
	v_mov_b32_e32 v5, v3
	v_mov_b32_e32 v4, v2
; %bb.415:
	s_or_b64 exec, exec, s[46:47]
	v_mov_b32_dpp v7, v10 row_bcast:31 row_mask:0xf bank_mask:0xf
	v_add_co_u32_e64 v7, s[46:47], v4, v7
	v_mov_b32_dpp v2, v3 row_bcast:31 row_mask:0xf bank_mask:0xf
	v_addc_co_u32_e64 v3, s[46:47], 0, v5, s[46:47]
	v_or_b32_e32 v9, 63, v0
	v_cmp_lt_u32_e32 vcc, 31, v6
	v_lshrrev_b32_e32 v8, 6, v0
	v_cmp_eq_u32_e64 s[46:47], v0, v9
	s_and_saveexec_b64 s[48:49], s[46:47]
	s_cbranch_execz .LBB21_417
; %bb.416:
	v_add_co_u32_e64 v11, s[46:47], 0, v7
	v_addc_co_u32_e64 v2, s[46:47], v2, v3, s[46:47]
	v_lshlrev_b32_e32 v9, 3, v8
	v_cndmask_b32_e32 v3, v5, v2, vcc
	v_cndmask_b32_e32 v2, v4, v11, vcc
	ds_write_b64 v9, v[2:3]
.LBB21_417:
	s_or_b64 exec, exec, s[48:49]
	v_cmp_gt_u32_e64 s[46:47], 4, v0
	s_waitcnt lgkmcnt(0)
	s_barrier
	s_and_saveexec_b64 s[48:49], s[46:47]
	s_cbranch_execz .LBB21_421
; %bb.418:
	v_lshlrev_b32_e32 v4, 3, v0
	ds_read_b64 v[2:3], v4
	v_and_b32_e32 v5, 3, v6
	v_cmp_ne_u32_e64 s[46:47], 0, v5
	s_waitcnt lgkmcnt(0)
	v_mov_b32_dpp v12, v2 row_shr:1 row_mask:0xf bank_mask:0xf
	v_mov_b32_dpp v11, v3 row_shr:1 row_mask:0xf bank_mask:0xf
	v_mov_b32_e32 v9, v2
	s_and_saveexec_b64 s[50:51], s[46:47]
; %bb.419:
	v_add_co_u32_e64 v9, s[46:47], v2, v12
	v_addc_co_u32_e64 v3, s[46:47], 0, v3, s[46:47]
	v_add_co_u32_e64 v2, s[46:47], 0, v9
	v_addc_co_u32_e64 v3, s[46:47], v11, v3, s[46:47]
; %bb.420:
	s_or_b64 exec, exec, s[50:51]
	v_mov_b32_dpp v9, v9 row_shr:2 row_mask:0xf bank_mask:0xf
	v_add_co_u32_e64 v9, s[46:47], v2, v9
	v_addc_co_u32_e64 v12, s[46:47], 0, v3, s[46:47]
	v_mov_b32_dpp v11, v3 row_shr:2 row_mask:0xf bank_mask:0xf
	v_add_co_u32_e64 v9, s[46:47], 0, v9
	v_addc_co_u32_e64 v11, s[46:47], v12, v11, s[46:47]
	v_cmp_lt_u32_e64 s[46:47], 1, v5
	v_cndmask_b32_e64 v3, v3, v11, s[46:47]
	v_cndmask_b32_e64 v2, v2, v9, s[46:47]
	ds_write_b64 v4, v[2:3]
.LBB21_421:
	s_or_b64 exec, exec, s[48:49]
	v_mov_b32_e32 v4, 0
	v_cmp_lt_u32_e64 s[46:47], 63, v0
	s_waitcnt lgkmcnt(0)
	s_barrier
	v_mov_b32_e32 v5, 0
	s_and_saveexec_b64 s[48:49], s[46:47]
; %bb.422:
	v_lshl_add_u32 v2, v8, 3, -8
	ds_read_b64 v[4:5], v2
; %bb.423:
	s_or_b64 exec, exec, s[48:49]
	v_cndmask_b32_e32 v2, v10, v7, vcc
	v_subrev_co_u32_e32 v3, vcc, 1, v6
	s_waitcnt lgkmcnt(0)
	v_and_b32_e32 v5, 64, v6
	v_cmp_lt_i32_e64 s[46:47], v3, v5
	v_cndmask_b32_e64 v3, v3, v6, s[46:47]
	v_add_u32_e32 v2, v2, v4
	v_lshlrev_b32_e32 v3, 2, v3
	ds_bpermute_b32 v6, v3, v2
	v_mov_b32_e32 v5, 0
	ds_read_b64 v[2:3], v5 offset:24
	s_waitcnt lgkmcnt(1)
	v_cndmask_b32_e32 v6, v6, v4, vcc
	s_and_saveexec_b64 s[46:47], s[2:3]
	s_cbranch_execz .LBB21_425
; %bb.424:
	s_add_u32 s2, s52, 0x400
	s_addc_u32 s3, s53, 0
	v_mov_b32_e32 v8, s3
	v_mov_b32_e32 v4, 2
	;; [unrolled: 1-line block ×3, first 2 shown]
	s_waitcnt lgkmcnt(0)
	;;#ASMSTART
	global_store_dwordx4 v[7:8], v[2:5] off	
s_waitcnt vmcnt(0)
	;;#ASMEND
.LBB21_425:
	s_or_b64 exec, exec, s[46:47]
	v_mov_b32_e32 v4, 0
	v_mov_b32_e32 v5, 0
.LBB21_426:
	s_waitcnt lgkmcnt(0)
	v_sub_u32_e32 v3, v6, v4
	s_barrier
	s_and_saveexec_b64 s[2:3], s[44:45]
	s_cbranch_execnz .LBB21_457
; %bb.427:
	s_or_b64 exec, exec, s[2:3]
	s_and_saveexec_b64 s[0:1], s[42:43]
	s_cbranch_execnz .LBB21_458
.LBB21_428:
	s_or_b64 exec, exec, s[0:1]
	s_and_saveexec_b64 s[0:1], s[40:41]
	s_cbranch_execnz .LBB21_459
.LBB21_429:
	s_or_b64 exec, exec, s[0:1]
	s_and_saveexec_b64 s[0:1], s[38:39]
	s_cbranch_execnz .LBB21_460
.LBB21_430:
	s_or_b64 exec, exec, s[0:1]
	s_and_saveexec_b64 s[0:1], s[36:37]
	s_cbranch_execnz .LBB21_461
.LBB21_431:
	s_or_b64 exec, exec, s[0:1]
	s_and_saveexec_b64 s[0:1], s[34:35]
.LBB21_432:
	v_cndmask_b32_e64 v6, v31, v32, s[12:13]
	v_lshlrev_b32_e32 v7, 2, v3
	v_add_u32_e32 v3, 1, v3
	ds_write_b32 v7, v6 offset:1024
.LBB21_433:
	s_or_b64 exec, exec, s[0:1]
	v_and_b32_e32 v6, 64, v60
	v_cmp_ne_u32_e32 vcc, 0, v6
	s_and_saveexec_b64 s[0:1], vcc
; %bb.434:
	v_cndmask_b32_e64 v6, v33, v34, s[14:15]
	v_lshlrev_b32_e32 v7, 2, v3
	v_add_u32_e32 v3, 1, v3
	ds_write_b32 v7, v6 offset:1024
; %bb.435:
	s_or_b64 exec, exec, s[0:1]
	v_and_b32_e32 v6, 0x80, v59
	v_cmp_ne_u32_e32 vcc, 0, v6
	s_and_saveexec_b64 s[0:1], vcc
; %bb.436:
	v_cndmask_b32_e64 v6, v35, v36, s[16:17]
	v_lshlrev_b32_e32 v7, 2, v3
	v_add_u32_e32 v3, 1, v3
	ds_write_b32 v7, v6 offset:1024
; %bb.437:
	;; [unrolled: 10-line block ×9, first 2 shown]
	s_or_b64 exec, exec, s[0:1]
	v_and_b32_e32 v6, 0x8000, v55
	v_cmp_ne_u32_e32 vcc, 0, v6
	s_and_saveexec_b64 s[2:3], vcc
	s_cbranch_execz .LBB21_453
; %bb.452:
	v_cmp_lt_i32_e32 vcc, v53, v51
	v_cmp_lt_i32_e64 s[0:1], v54, v20
	v_cmp_ge_i32_sdwa s[4:5], v52, sext(v19) src0_sel:DWORD src1_sel:WORD_1
	s_and_b64 s[0:1], s[0:1], vcc
	s_or_b64 vcc, s[4:5], s[0:1]
	v_cndmask_b32_e32 v6, v51, v53, vcc
	v_lshlrev_b32_e32 v3, 2, v3
	ds_write_b32 v3, v6 offset:1024
.LBB21_453:
	s_or_b64 exec, exec, s[2:3]
	v_cmp_lt_i32_e32 vcc, v0, v2
	s_waitcnt lgkmcnt(0)
	s_barrier
	s_and_saveexec_b64 s[0:1], vcc
	s_cbranch_execz .LBB21_456
; %bb.454:
	v_mov_b32_e32 v3, 0x400
	v_lshl_or_b32 v6, v0, 2, v3
	v_lshlrev_b64 v[3:4], 2, v[4:5]
	v_lshlrev_b64 v[7:8], 2, v[0:1]
	v_mov_b32_e32 v1, s55
	v_add_co_u32_e32 v3, vcc, s54, v3
	v_addc_co_u32_e32 v1, vcc, v1, v4, vcc
	v_add_co_u32_e32 v3, vcc, v3, v7
	v_addc_co_u32_e32 v4, vcc, v1, v8, vcc
	s_mov_b64 s[0:1], 0
.LBB21_455:                             ; =>This Inner Loop Header: Depth=1
	ds_read_b32 v1, v6
	v_add_u32_e32 v0, 0x100, v0
	v_cmp_ge_i32_e32 vcc, v0, v2
	s_or_b64 s[0:1], vcc, s[0:1]
	v_add_u32_e32 v6, 0x400, v6
	s_waitcnt lgkmcnt(0)
	global_store_dword v[3:4], v1, off
	v_add_co_u32_e32 v3, vcc, 0x400, v3
	v_addc_co_u32_e32 v4, vcc, 0, v4, vcc
	s_andn2_b64 exec, exec, s[0:1]
	s_cbranch_execnz .LBB21_455
.LBB21_456:
	s_endpgm
.LBB21_457:
	v_cndmask_b32_e64 v6, v21, v22, s[0:1]
	v_lshlrev_b32_e32 v7, 2, v3
	v_add_u32_e32 v3, 1, v3
	ds_write_b32 v7, v6 offset:1024
	s_or_b64 exec, exec, s[2:3]
	s_and_saveexec_b64 s[0:1], s[42:43]
	s_cbranch_execz .LBB21_428
.LBB21_458:
	v_cndmask_b32_e64 v6, v23, v24, s[4:5]
	v_lshlrev_b32_e32 v7, 2, v3
	v_add_u32_e32 v3, 1, v3
	ds_write_b32 v7, v6 offset:1024
	s_or_b64 exec, exec, s[0:1]
	s_and_saveexec_b64 s[0:1], s[40:41]
	s_cbranch_execz .LBB21_429
.LBB21_459:
	v_cndmask_b32_e64 v6, v25, v26, s[6:7]
	v_lshlrev_b32_e32 v7, 2, v3
	v_add_u32_e32 v3, 1, v3
	ds_write_b32 v7, v6 offset:1024
	s_or_b64 exec, exec, s[0:1]
	s_and_saveexec_b64 s[0:1], s[38:39]
	s_cbranch_execz .LBB21_430
.LBB21_460:
	v_cndmask_b32_e64 v6, v27, v28, s[8:9]
	v_lshlrev_b32_e32 v7, 2, v3
	v_add_u32_e32 v3, 1, v3
	ds_write_b32 v7, v6 offset:1024
	s_or_b64 exec, exec, s[0:1]
	s_and_saveexec_b64 s[0:1], s[36:37]
	s_cbranch_execz .LBB21_431
.LBB21_461:
	v_cndmask_b32_e64 v6, v29, v30, s[10:11]
	v_lshlrev_b32_e32 v7, 2, v3
	v_add_u32_e32 v3, 1, v3
	ds_write_b32 v7, v6 offset:1024
	s_or_b64 exec, exec, s[0:1]
	s_and_saveexec_b64 s[0:1], s[34:35]
	s_cbranch_execnz .LBB21_432
	s_branch .LBB21_433
	.section	.rodata,"a",@progbits
	.p2align	6, 0x0
	.amdhsa_kernel _ZN6thrust23THRUST_200600_302600_NS11hip_rocprim16__set_operations22lookback_set_op_kernelIN7rocprim17ROCPRIM_400000_NS13kernel_configILj256ELj16ELj4294967295EEELb0ENS0_6detail15normal_iteratorINS0_10device_ptrIKiEEEESD_PiSE_lNS9_INSA_IiEEEESE_NS0_4lessIiEENS2_16serial_set_unionENS5_6detail19lookback_scan_stateIlLb0ELb1EEEEEvT1_T2_T3_T4_T6_T7_T8_T9_PNS0_4pairIT5_SW_EEPSW_T10_NSK_16ordered_block_idIjEE
		.amdhsa_group_segment_fixed_size 36868
		.amdhsa_private_segment_fixed_size 0
		.amdhsa_kernarg_size 344
		.amdhsa_user_sgpr_count 6
		.amdhsa_user_sgpr_private_segment_buffer 1
		.amdhsa_user_sgpr_dispatch_ptr 0
		.amdhsa_user_sgpr_queue_ptr 0
		.amdhsa_user_sgpr_kernarg_segment_ptr 1
		.amdhsa_user_sgpr_dispatch_id 0
		.amdhsa_user_sgpr_flat_scratch_init 0
		.amdhsa_user_sgpr_private_segment_size 0
		.amdhsa_uses_dynamic_stack 0
		.amdhsa_system_sgpr_private_segment_wavefront_offset 0
		.amdhsa_system_sgpr_workgroup_id_x 1
		.amdhsa_system_sgpr_workgroup_id_y 0
		.amdhsa_system_sgpr_workgroup_id_z 0
		.amdhsa_system_sgpr_workgroup_info 0
		.amdhsa_system_vgpr_workitem_id 2
		.amdhsa_next_free_vgpr 129
		.amdhsa_next_free_sgpr 98
		.amdhsa_reserve_vcc 1
		.amdhsa_reserve_flat_scratch 0
		.amdhsa_float_round_mode_32 0
		.amdhsa_float_round_mode_16_64 0
		.amdhsa_float_denorm_mode_32 3
		.amdhsa_float_denorm_mode_16_64 3
		.amdhsa_dx10_clamp 1
		.amdhsa_ieee_mode 1
		.amdhsa_fp16_overflow 0
		.amdhsa_exception_fp_ieee_invalid_op 0
		.amdhsa_exception_fp_denorm_src 0
		.amdhsa_exception_fp_ieee_div_zero 0
		.amdhsa_exception_fp_ieee_overflow 0
		.amdhsa_exception_fp_ieee_underflow 0
		.amdhsa_exception_fp_ieee_inexact 0
		.amdhsa_exception_int_div_zero 0
	.end_amdhsa_kernel
	.section	.text._ZN6thrust23THRUST_200600_302600_NS11hip_rocprim16__set_operations22lookback_set_op_kernelIN7rocprim17ROCPRIM_400000_NS13kernel_configILj256ELj16ELj4294967295EEELb0ENS0_6detail15normal_iteratorINS0_10device_ptrIKiEEEESD_PiSE_lNS9_INSA_IiEEEESE_NS0_4lessIiEENS2_16serial_set_unionENS5_6detail19lookback_scan_stateIlLb0ELb1EEEEEvT1_T2_T3_T4_T6_T7_T8_T9_PNS0_4pairIT5_SW_EEPSW_T10_NSK_16ordered_block_idIjEE,"axG",@progbits,_ZN6thrust23THRUST_200600_302600_NS11hip_rocprim16__set_operations22lookback_set_op_kernelIN7rocprim17ROCPRIM_400000_NS13kernel_configILj256ELj16ELj4294967295EEELb0ENS0_6detail15normal_iteratorINS0_10device_ptrIKiEEEESD_PiSE_lNS9_INSA_IiEEEESE_NS0_4lessIiEENS2_16serial_set_unionENS5_6detail19lookback_scan_stateIlLb0ELb1EEEEEvT1_T2_T3_T4_T6_T7_T8_T9_PNS0_4pairIT5_SW_EEPSW_T10_NSK_16ordered_block_idIjEE,comdat
.Lfunc_end21:
	.size	_ZN6thrust23THRUST_200600_302600_NS11hip_rocprim16__set_operations22lookback_set_op_kernelIN7rocprim17ROCPRIM_400000_NS13kernel_configILj256ELj16ELj4294967295EEELb0ENS0_6detail15normal_iteratorINS0_10device_ptrIKiEEEESD_PiSE_lNS9_INSA_IiEEEESE_NS0_4lessIiEENS2_16serial_set_unionENS5_6detail19lookback_scan_stateIlLb0ELb1EEEEEvT1_T2_T3_T4_T6_T7_T8_T9_PNS0_4pairIT5_SW_EEPSW_T10_NSK_16ordered_block_idIjEE, .Lfunc_end21-_ZN6thrust23THRUST_200600_302600_NS11hip_rocprim16__set_operations22lookback_set_op_kernelIN7rocprim17ROCPRIM_400000_NS13kernel_configILj256ELj16ELj4294967295EEELb0ENS0_6detail15normal_iteratorINS0_10device_ptrIKiEEEESD_PiSE_lNS9_INSA_IiEEEESE_NS0_4lessIiEENS2_16serial_set_unionENS5_6detail19lookback_scan_stateIlLb0ELb1EEEEEvT1_T2_T3_T4_T6_T7_T8_T9_PNS0_4pairIT5_SW_EEPSW_T10_NSK_16ordered_block_idIjEE
                                        ; -- End function
	.set _ZN6thrust23THRUST_200600_302600_NS11hip_rocprim16__set_operations22lookback_set_op_kernelIN7rocprim17ROCPRIM_400000_NS13kernel_configILj256ELj16ELj4294967295EEELb0ENS0_6detail15normal_iteratorINS0_10device_ptrIKiEEEESD_PiSE_lNS9_INSA_IiEEEESE_NS0_4lessIiEENS2_16serial_set_unionENS5_6detail19lookback_scan_stateIlLb0ELb1EEEEEvT1_T2_T3_T4_T6_T7_T8_T9_PNS0_4pairIT5_SW_EEPSW_T10_NSK_16ordered_block_idIjEE.num_vgpr, 82
	.set _ZN6thrust23THRUST_200600_302600_NS11hip_rocprim16__set_operations22lookback_set_op_kernelIN7rocprim17ROCPRIM_400000_NS13kernel_configILj256ELj16ELj4294967295EEELb0ENS0_6detail15normal_iteratorINS0_10device_ptrIKiEEEESD_PiSE_lNS9_INSA_IiEEEESE_NS0_4lessIiEENS2_16serial_set_unionENS5_6detail19lookback_scan_stateIlLb0ELb1EEEEEvT1_T2_T3_T4_T6_T7_T8_T9_PNS0_4pairIT5_SW_EEPSW_T10_NSK_16ordered_block_idIjEE.num_agpr, 0
	.set _ZN6thrust23THRUST_200600_302600_NS11hip_rocprim16__set_operations22lookback_set_op_kernelIN7rocprim17ROCPRIM_400000_NS13kernel_configILj256ELj16ELj4294967295EEELb0ENS0_6detail15normal_iteratorINS0_10device_ptrIKiEEEESD_PiSE_lNS9_INSA_IiEEEESE_NS0_4lessIiEENS2_16serial_set_unionENS5_6detail19lookback_scan_stateIlLb0ELb1EEEEEvT1_T2_T3_T4_T6_T7_T8_T9_PNS0_4pairIT5_SW_EEPSW_T10_NSK_16ordered_block_idIjEE.numbered_sgpr, 64
	.set _ZN6thrust23THRUST_200600_302600_NS11hip_rocprim16__set_operations22lookback_set_op_kernelIN7rocprim17ROCPRIM_400000_NS13kernel_configILj256ELj16ELj4294967295EEELb0ENS0_6detail15normal_iteratorINS0_10device_ptrIKiEEEESD_PiSE_lNS9_INSA_IiEEEESE_NS0_4lessIiEENS2_16serial_set_unionENS5_6detail19lookback_scan_stateIlLb0ELb1EEEEEvT1_T2_T3_T4_T6_T7_T8_T9_PNS0_4pairIT5_SW_EEPSW_T10_NSK_16ordered_block_idIjEE.num_named_barrier, 0
	.set _ZN6thrust23THRUST_200600_302600_NS11hip_rocprim16__set_operations22lookback_set_op_kernelIN7rocprim17ROCPRIM_400000_NS13kernel_configILj256ELj16ELj4294967295EEELb0ENS0_6detail15normal_iteratorINS0_10device_ptrIKiEEEESD_PiSE_lNS9_INSA_IiEEEESE_NS0_4lessIiEENS2_16serial_set_unionENS5_6detail19lookback_scan_stateIlLb0ELb1EEEEEvT1_T2_T3_T4_T6_T7_T8_T9_PNS0_4pairIT5_SW_EEPSW_T10_NSK_16ordered_block_idIjEE.private_seg_size, 0
	.set _ZN6thrust23THRUST_200600_302600_NS11hip_rocprim16__set_operations22lookback_set_op_kernelIN7rocprim17ROCPRIM_400000_NS13kernel_configILj256ELj16ELj4294967295EEELb0ENS0_6detail15normal_iteratorINS0_10device_ptrIKiEEEESD_PiSE_lNS9_INSA_IiEEEESE_NS0_4lessIiEENS2_16serial_set_unionENS5_6detail19lookback_scan_stateIlLb0ELb1EEEEEvT1_T2_T3_T4_T6_T7_T8_T9_PNS0_4pairIT5_SW_EEPSW_T10_NSK_16ordered_block_idIjEE.uses_vcc, 1
	.set _ZN6thrust23THRUST_200600_302600_NS11hip_rocprim16__set_operations22lookback_set_op_kernelIN7rocprim17ROCPRIM_400000_NS13kernel_configILj256ELj16ELj4294967295EEELb0ENS0_6detail15normal_iteratorINS0_10device_ptrIKiEEEESD_PiSE_lNS9_INSA_IiEEEESE_NS0_4lessIiEENS2_16serial_set_unionENS5_6detail19lookback_scan_stateIlLb0ELb1EEEEEvT1_T2_T3_T4_T6_T7_T8_T9_PNS0_4pairIT5_SW_EEPSW_T10_NSK_16ordered_block_idIjEE.uses_flat_scratch, 0
	.set _ZN6thrust23THRUST_200600_302600_NS11hip_rocprim16__set_operations22lookback_set_op_kernelIN7rocprim17ROCPRIM_400000_NS13kernel_configILj256ELj16ELj4294967295EEELb0ENS0_6detail15normal_iteratorINS0_10device_ptrIKiEEEESD_PiSE_lNS9_INSA_IiEEEESE_NS0_4lessIiEENS2_16serial_set_unionENS5_6detail19lookback_scan_stateIlLb0ELb1EEEEEvT1_T2_T3_T4_T6_T7_T8_T9_PNS0_4pairIT5_SW_EEPSW_T10_NSK_16ordered_block_idIjEE.has_dyn_sized_stack, 0
	.set _ZN6thrust23THRUST_200600_302600_NS11hip_rocprim16__set_operations22lookback_set_op_kernelIN7rocprim17ROCPRIM_400000_NS13kernel_configILj256ELj16ELj4294967295EEELb0ENS0_6detail15normal_iteratorINS0_10device_ptrIKiEEEESD_PiSE_lNS9_INSA_IiEEEESE_NS0_4lessIiEENS2_16serial_set_unionENS5_6detail19lookback_scan_stateIlLb0ELb1EEEEEvT1_T2_T3_T4_T6_T7_T8_T9_PNS0_4pairIT5_SW_EEPSW_T10_NSK_16ordered_block_idIjEE.has_recursion, 0
	.set _ZN6thrust23THRUST_200600_302600_NS11hip_rocprim16__set_operations22lookback_set_op_kernelIN7rocprim17ROCPRIM_400000_NS13kernel_configILj256ELj16ELj4294967295EEELb0ENS0_6detail15normal_iteratorINS0_10device_ptrIKiEEEESD_PiSE_lNS9_INSA_IiEEEESE_NS0_4lessIiEENS2_16serial_set_unionENS5_6detail19lookback_scan_stateIlLb0ELb1EEEEEvT1_T2_T3_T4_T6_T7_T8_T9_PNS0_4pairIT5_SW_EEPSW_T10_NSK_16ordered_block_idIjEE.has_indirect_call, 0
	.section	.AMDGPU.csdata,"",@progbits
; Kernel info:
; codeLenInByte = 18904
; TotalNumSgprs: 68
; NumVgprs: 82
; ScratchSize: 0
; MemoryBound: 0
; FloatMode: 240
; IeeeMode: 1
; LDSByteSize: 36868 bytes/workgroup (compile time only)
; SGPRBlocks: 12
; VGPRBlocks: 32
; NumSGPRsForWavesPerEU: 102
; NumVGPRsForWavesPerEU: 129
; Occupancy: 1
; WaveLimiterHint : 1
; COMPUTE_PGM_RSRC2:SCRATCH_EN: 0
; COMPUTE_PGM_RSRC2:USER_SGPR: 6
; COMPUTE_PGM_RSRC2:TRAP_HANDLER: 0
; COMPUTE_PGM_RSRC2:TGID_X_EN: 1
; COMPUTE_PGM_RSRC2:TGID_Y_EN: 0
; COMPUTE_PGM_RSRC2:TGID_Z_EN: 0
; COMPUTE_PGM_RSRC2:TIDIG_COMP_CNT: 2
	.section	.text._ZN6thrust23THRUST_200600_302600_NS11hip_rocprim14__parallel_for6kernelILj256EZNS1_16__set_operations9doit_stepILb0ENS0_6detail15normal_iteratorINS0_10device_ptrIKiEEEESB_PiSC_lNS7_INS8_IiEEEESC_NS0_4lessIiEENS4_23serial_set_intersectionEEE10hipError_tPvRmT0_T1_T2_T3_T4_SP_T5_T6_PSP_T7_T8_P12ihipStream_tbEUllE_jLj1EEEvSL_SM_SM_,"axG",@progbits,_ZN6thrust23THRUST_200600_302600_NS11hip_rocprim14__parallel_for6kernelILj256EZNS1_16__set_operations9doit_stepILb0ENS0_6detail15normal_iteratorINS0_10device_ptrIKiEEEESB_PiSC_lNS7_INS8_IiEEEESC_NS0_4lessIiEENS4_23serial_set_intersectionEEE10hipError_tPvRmT0_T1_T2_T3_T4_SP_T5_T6_PSP_T7_T8_P12ihipStream_tbEUllE_jLj1EEEvSL_SM_SM_,comdat
	.protected	_ZN6thrust23THRUST_200600_302600_NS11hip_rocprim14__parallel_for6kernelILj256EZNS1_16__set_operations9doit_stepILb0ENS0_6detail15normal_iteratorINS0_10device_ptrIKiEEEESB_PiSC_lNS7_INS8_IiEEEESC_NS0_4lessIiEENS4_23serial_set_intersectionEEE10hipError_tPvRmT0_T1_T2_T3_T4_SP_T5_T6_PSP_T7_T8_P12ihipStream_tbEUllE_jLj1EEEvSL_SM_SM_ ; -- Begin function _ZN6thrust23THRUST_200600_302600_NS11hip_rocprim14__parallel_for6kernelILj256EZNS1_16__set_operations9doit_stepILb0ENS0_6detail15normal_iteratorINS0_10device_ptrIKiEEEESB_PiSC_lNS7_INS8_IiEEEESC_NS0_4lessIiEENS4_23serial_set_intersectionEEE10hipError_tPvRmT0_T1_T2_T3_T4_SP_T5_T6_PSP_T7_T8_P12ihipStream_tbEUllE_jLj1EEEvSL_SM_SM_
	.globl	_ZN6thrust23THRUST_200600_302600_NS11hip_rocprim14__parallel_for6kernelILj256EZNS1_16__set_operations9doit_stepILb0ENS0_6detail15normal_iteratorINS0_10device_ptrIKiEEEESB_PiSC_lNS7_INS8_IiEEEESC_NS0_4lessIiEENS4_23serial_set_intersectionEEE10hipError_tPvRmT0_T1_T2_T3_T4_SP_T5_T6_PSP_T7_T8_P12ihipStream_tbEUllE_jLj1EEEvSL_SM_SM_
	.p2align	8
	.type	_ZN6thrust23THRUST_200600_302600_NS11hip_rocprim14__parallel_for6kernelILj256EZNS1_16__set_operations9doit_stepILb0ENS0_6detail15normal_iteratorINS0_10device_ptrIKiEEEESB_PiSC_lNS7_INS8_IiEEEESC_NS0_4lessIiEENS4_23serial_set_intersectionEEE10hipError_tPvRmT0_T1_T2_T3_T4_SP_T5_T6_PSP_T7_T8_P12ihipStream_tbEUllE_jLj1EEEvSL_SM_SM_,@function
_ZN6thrust23THRUST_200600_302600_NS11hip_rocprim14__parallel_for6kernelILj256EZNS1_16__set_operations9doit_stepILb0ENS0_6detail15normal_iteratorINS0_10device_ptrIKiEEEESB_PiSC_lNS7_INS8_IiEEEESC_NS0_4lessIiEENS4_23serial_set_intersectionEEE10hipError_tPvRmT0_T1_T2_T3_T4_SP_T5_T6_PSP_T7_T8_P12ihipStream_tbEUllE_jLj1EEEvSL_SM_SM_: ; @_ZN6thrust23THRUST_200600_302600_NS11hip_rocprim14__parallel_for6kernelILj256EZNS1_16__set_operations9doit_stepILb0ENS0_6detail15normal_iteratorINS0_10device_ptrIKiEEEESB_PiSC_lNS7_INS8_IiEEEESC_NS0_4lessIiEENS4_23serial_set_intersectionEEE10hipError_tPvRmT0_T1_T2_T3_T4_SP_T5_T6_PSP_T7_T8_P12ihipStream_tbEUllE_jLj1EEEvSL_SM_SM_
; %bb.0:
	s_load_dwordx2 s[0:1], s[4:5], 0x30
	s_load_dwordx2 s[2:3], s[4:5], 0x20
	s_load_dwordx8 s[8:15], s[4:5], 0x0
	s_lshl_b32 s4, s6, 8
	s_waitcnt lgkmcnt(0)
	s_add_i32 s18, s1, s4
	s_sub_i32 s4, s0, s18
	s_cmpk_gt_u32 s4, 0xff
	s_mov_b64 s[0:1], -1
	s_cbranch_scc0 .LBB22_3
; %bb.1:
	s_andn2_b64 vcc, exec, s[0:1]
	s_cbranch_vccz .LBB22_40
.LBB22_2:
	s_endpgm
.LBB22_3:
	v_cmp_gt_u32_e32 vcc, s4, v0
	s_and_saveexec_b64 s[4:5], vcc
	s_cbranch_execz .LBB22_39
; %bb.4:
	v_add_u32_e32 v3, s18, v0
	s_movk_i32 s0, 0xfff
	v_mad_u64_u32 v[1:2], s[0:1], v3, s0, 0
	s_add_u32 s0, s10, s8
	s_addc_u32 s1, s11, s9
	v_cmp_lt_i64_e32 vcc, s[0:1], v[1:2]
	v_mov_b32_e32 v5, s1
	v_cndmask_b32_e32 v6, v2, v5, vcc
	v_mov_b32_e32 v2, s0
	v_cndmask_b32_e32 v5, v1, v2, vcc
	v_mov_b32_e32 v2, s11
	v_subrev_co_u32_e32 v1, vcc, s10, v5
	v_subb_co_u32_e32 v2, vcc, v6, v2, vcc
	v_cmp_lt_i64_e32 vcc, 0, v[1:2]
	v_mov_b32_e32 v7, s9
	v_cndmask_b32_e32 v2, 0, v2, vcc
	v_cndmask_b32_e32 v1, 0, v1, vcc
	v_cmp_lt_i64_e32 vcc, s[8:9], v[5:6]
	v_mov_b32_e32 v4, 0
	v_cndmask_b32_e32 v8, v6, v7, vcc
	v_mov_b32_e32 v7, s8
	v_cndmask_b32_e32 v7, v5, v7, vcc
	v_cmp_lt_i64_e32 vcc, v[1:2], v[7:8]
	s_mov_b64 s[6:7], 0
	s_and_saveexec_b64 s[0:1], vcc
	s_cbranch_execz .LBB22_8
; %bb.5:
	v_lshlrev_b64 v[9:10], 2, v[5:6]
	v_mov_b32_e32 v11, s3
	v_add_co_u32_e32 v9, vcc, s2, v9
	v_addc_co_u32_e32 v10, vcc, v11, v10, vcc
.LBB22_6:                               ; =>This Inner Loop Header: Depth=1
	v_add_co_u32_e32 v11, vcc, v7, v1
	v_addc_co_u32_e32 v12, vcc, v8, v2, vcc
	v_lshrrev_b64 v[11:12], 1, v[11:12]
	v_mov_b32_e32 v16, s15
	v_lshlrev_b64 v[13:14], 2, v[11:12]
	v_add_co_u32_e32 v15, vcc, s14, v13
	v_addc_co_u32_e32 v16, vcc, v16, v14, vcc
	v_xor_b32_e32 v13, -4, v13
	v_xor_b32_e32 v14, -1, v14
	v_add_co_u32_e32 v13, vcc, v9, v13
	v_addc_co_u32_e32 v14, vcc, v10, v14, vcc
	global_load_dword v15, v[15:16], off
	s_nop 0
	global_load_dword v13, v[13:14], off
	v_add_co_u32_e32 v14, vcc, 1, v11
	v_addc_co_u32_e32 v16, vcc, 0, v12, vcc
	s_waitcnt vmcnt(0)
	v_cmp_lt_i32_e32 vcc, v13, v15
	v_cndmask_b32_e32 v8, v8, v12, vcc
	v_cndmask_b32_e32 v7, v7, v11, vcc
	;; [unrolled: 1-line block ×4, first 2 shown]
	v_cmp_ge_i64_e32 vcc, v[1:2], v[7:8]
	s_or_b64 s[6:7], vcc, s[6:7]
	s_andn2_b64 exec, exec, s[6:7]
	s_cbranch_execnz .LBB22_6
; %bb.7:
	s_or_b64 exec, exec, s[6:7]
.LBB22_8:
	s_or_b64 exec, exec, s[0:1]
	v_sub_co_u32_e32 v11, vcc, v5, v1
	v_subb_co_u32_e32 v12, vcc, v6, v2, vcc
	v_cmp_gt_i64_e32 vcc, s[10:11], v[11:12]
	v_mov_b32_e32 v9, 0
	v_mov_b32_e32 v10, 0
	s_and_saveexec_b64 s[6:7], vcc
	s_cbranch_execz .LBB22_38
; %bb.9:
	v_lshlrev_b64 v[7:8], 2, v[11:12]
	v_mov_b32_e32 v10, s3
	v_add_co_u32_e32 v9, vcc, s2, v7
	v_addc_co_u32_e32 v10, vcc, v10, v8, vcc
	global_load_dword v19, v[9:10], off
	v_mov_b32_e32 v7, 0
	v_cmp_lt_i64_e32 vcc, 0, v[1:2]
	v_mov_b32_e32 v13, 0
	v_mov_b32_e32 v8, 0
	;; [unrolled: 1-line block ×3, first 2 shown]
	s_and_saveexec_b64 s[0:1], vcc
	s_cbranch_execnz .LBB22_14
; %bb.10:
	s_or_b64 exec, exec, s[0:1]
	v_cmp_lt_u64_e32 vcc, v[7:8], v[13:14]
	s_and_saveexec_b64 s[0:1], vcc
	s_cbranch_execnz .LBB22_15
.LBB22_11:
	s_or_b64 exec, exec, s[0:1]
	v_cmp_lt_u64_e32 vcc, v[7:8], v[13:14]
	s_and_saveexec_b64 s[0:1], vcc
	s_cbranch_execnz .LBB22_16
.LBB22_12:
	s_or_b64 exec, exec, s[0:1]
	v_cmp_lt_u64_e32 vcc, v[7:8], v[13:14]
	s_and_saveexec_b64 s[0:1], vcc
	s_cbranch_execnz .LBB22_17
.LBB22_13:
	s_or_b64 exec, exec, s[0:1]
	v_cmp_lt_u64_e32 vcc, v[7:8], v[13:14]
	s_and_saveexec_b64 s[0:1], vcc
	s_cbranch_execnz .LBB22_18
	s_branch .LBB22_21
.LBB22_14:
	s_movk_i32 s19, 0x1ff
	v_mad_u64_u32 v[7:8], s[16:17], v1, s19, 0
	v_mov_b32_e32 v15, s15
	v_mad_u64_u32 v[13:14], s[16:17], v2, s19, v[8:9]
	v_mov_b32_e32 v8, v13
	v_lshrrev_b64 v[13:14], 9, v[7:8]
	v_lshlrev_b64 v[7:8], 2, v[13:14]
	v_add_co_u32_e32 v7, vcc, s14, v7
	v_addc_co_u32_e32 v8, vcc, v15, v8, vcc
	global_load_dword v7, v[7:8], off
	v_add_co_u32_e32 v15, vcc, 1, v13
	v_addc_co_u32_e32 v8, vcc, 0, v14, vcc
	s_waitcnt vmcnt(0)
	v_cmp_lt_i32_e32 vcc, v7, v19
	v_cndmask_b32_e32 v8, 0, v8, vcc
	v_cndmask_b32_e32 v7, 0, v15, vcc
	;; [unrolled: 1-line block ×4, first 2 shown]
	s_or_b64 exec, exec, s[0:1]
	v_cmp_lt_u64_e32 vcc, v[7:8], v[13:14]
	s_and_saveexec_b64 s[0:1], vcc
	s_cbranch_execz .LBB22_11
.LBB22_15:
	s_movk_i32 s19, 0x7f
	v_mad_u64_u32 v[15:16], s[16:17], v13, s19, v[7:8]
	v_mov_b32_e32 v20, s15
	v_mad_u64_u32 v[16:17], s[16:17], v14, s19, v[16:17]
	v_lshrrev_b64 v[15:16], 7, v[15:16]
	v_lshlrev_b64 v[17:18], 2, v[15:16]
	v_add_co_u32_e32 v17, vcc, s14, v17
	v_addc_co_u32_e32 v18, vcc, v20, v18, vcc
	global_load_dword v17, v[17:18], off
	v_add_co_u32_e32 v18, vcc, 1, v15
	v_addc_co_u32_e32 v20, vcc, 0, v16, vcc
	s_waitcnt vmcnt(0)
	v_cmp_lt_i32_e32 vcc, v17, v19
	v_cndmask_b32_e32 v8, v8, v20, vcc
	v_cndmask_b32_e32 v7, v7, v18, vcc
	v_cndmask_b32_e32 v14, v16, v14, vcc
	v_cndmask_b32_e32 v13, v15, v13, vcc
	s_or_b64 exec, exec, s[0:1]
	v_cmp_lt_u64_e32 vcc, v[7:8], v[13:14]
	s_and_saveexec_b64 s[0:1], vcc
	s_cbranch_execz .LBB22_12
.LBB22_16:
	v_mad_u64_u32 v[15:16], s[16:17], v13, 31, v[7:8]
	v_mov_b32_e32 v20, s15
	v_mad_u64_u32 v[16:17], s[16:17], v14, 31, v[16:17]
	v_lshrrev_b64 v[15:16], 5, v[15:16]
	v_lshlrev_b64 v[17:18], 2, v[15:16]
	v_add_co_u32_e32 v17, vcc, s14, v17
	v_addc_co_u32_e32 v18, vcc, v20, v18, vcc
	global_load_dword v17, v[17:18], off
	v_add_co_u32_e32 v18, vcc, 1, v15
	v_addc_co_u32_e32 v20, vcc, 0, v16, vcc
	s_waitcnt vmcnt(0)
	v_cmp_lt_i32_e32 vcc, v17, v19
	v_cndmask_b32_e32 v8, v8, v20, vcc
	v_cndmask_b32_e32 v7, v7, v18, vcc
	;; [unrolled: 1-line block ×4, first 2 shown]
	s_or_b64 exec, exec, s[0:1]
	v_cmp_lt_u64_e32 vcc, v[7:8], v[13:14]
	s_and_saveexec_b64 s[0:1], vcc
	s_cbranch_execz .LBB22_13
.LBB22_17:
	v_mad_u64_u32 v[15:16], s[16:17], v13, 15, v[7:8]
	v_mov_b32_e32 v20, s15
	v_mad_u64_u32 v[16:17], s[16:17], v14, 15, v[16:17]
	v_lshrrev_b64 v[15:16], 4, v[15:16]
	v_lshlrev_b64 v[17:18], 2, v[15:16]
	v_add_co_u32_e32 v17, vcc, s14, v17
	v_addc_co_u32_e32 v18, vcc, v20, v18, vcc
	global_load_dword v17, v[17:18], off
	v_add_co_u32_e32 v18, vcc, 1, v15
	v_addc_co_u32_e32 v20, vcc, 0, v16, vcc
	s_waitcnt vmcnt(0)
	v_cmp_lt_i32_e32 vcc, v17, v19
	v_cndmask_b32_e32 v8, v8, v20, vcc
	v_cndmask_b32_e32 v7, v7, v18, vcc
	;; [unrolled: 1-line block ×4, first 2 shown]
	s_or_b64 exec, exec, s[0:1]
	v_cmp_lt_u64_e32 vcc, v[7:8], v[13:14]
	s_and_saveexec_b64 s[0:1], vcc
	s_cbranch_execz .LBB22_21
.LBB22_18:
	s_mov_b64 s[16:17], 0
	v_mov_b32_e32 v15, s15
.LBB22_19:                              ; =>This Inner Loop Header: Depth=1
	v_add_co_u32_e32 v16, vcc, v7, v13
	v_addc_co_u32_e32 v17, vcc, v8, v14, vcc
	v_lshrrev_b64 v[16:17], 1, v[16:17]
	v_lshlrev_b64 v[20:21], 2, v[16:17]
	v_add_co_u32_e32 v20, vcc, s14, v20
	v_addc_co_u32_e32 v21, vcc, v15, v21, vcc
	global_load_dword v18, v[20:21], off
	v_add_co_u32_e32 v20, vcc, 1, v16
	v_addc_co_u32_e32 v21, vcc, 0, v17, vcc
	s_waitcnt vmcnt(0)
	v_cmp_lt_i32_e32 vcc, v18, v19
	v_cndmask_b32_e32 v8, v8, v21, vcc
	v_cndmask_b32_e32 v7, v7, v20, vcc
	;; [unrolled: 1-line block ×4, first 2 shown]
	v_cmp_ge_i64_e32 vcc, v[7:8], v[13:14]
	s_or_b64 s[16:17], vcc, s[16:17]
	s_andn2_b64 exec, exec, s[16:17]
	s_cbranch_execnz .LBB22_19
; %bb.20:
	s_or_b64 exec, exec, s[16:17]
.LBB22_21:
	s_or_b64 exec, exec, s[0:1]
	v_mov_b32_e32 v13, 0
	v_cmp_lt_i64_e32 vcc, 0, v[11:12]
	v_mov_b32_e32 v16, v12
	v_mov_b32_e32 v14, 0
	;; [unrolled: 1-line block ×3, first 2 shown]
	s_and_saveexec_b64 s[0:1], vcc
	s_cbranch_execnz .LBB22_26
; %bb.22:
	s_or_b64 exec, exec, s[0:1]
	v_cmp_lt_i64_e32 vcc, v[13:14], v[15:16]
	s_and_saveexec_b64 s[0:1], vcc
	s_cbranch_execnz .LBB22_27
.LBB22_23:
	s_or_b64 exec, exec, s[0:1]
	v_cmp_lt_i64_e32 vcc, v[13:14], v[15:16]
	s_and_saveexec_b64 s[0:1], vcc
	s_cbranch_execnz .LBB22_28
.LBB22_24:
	s_or_b64 exec, exec, s[0:1]
	v_cmp_lt_i64_e32 vcc, v[13:14], v[15:16]
	s_and_saveexec_b64 s[0:1], vcc
	s_cbranch_execnz .LBB22_29
.LBB22_25:
	s_or_b64 exec, exec, s[0:1]
	v_cmp_lt_i64_e32 vcc, v[13:14], v[15:16]
	s_and_saveexec_b64 s[0:1], vcc
	s_cbranch_execnz .LBB22_30
	s_branch .LBB22_33
.LBB22_26:
	s_movk_i32 s19, 0x1ff
	v_mad_u64_u32 v[13:14], s[16:17], v11, s19, 0
	v_mov_b32_e32 v17, s3
	v_mad_u64_u32 v[14:15], s[16:17], v12, s19, v[14:15]
	v_lshrrev_b64 v[15:16], 9, v[13:14]
	v_lshlrev_b64 v[13:14], 2, v[15:16]
	v_add_co_u32_e32 v13, vcc, s2, v13
	v_addc_co_u32_e32 v14, vcc, v17, v14, vcc
	global_load_dword v13, v[13:14], off
	v_add_co_u32_e32 v17, vcc, 1, v15
	v_addc_co_u32_e32 v14, vcc, 0, v16, vcc
	s_waitcnt vmcnt(0)
	v_cmp_lt_i32_e32 vcc, v13, v19
	v_cndmask_b32_e32 v14, 0, v14, vcc
	v_cndmask_b32_e32 v13, 0, v17, vcc
	;; [unrolled: 1-line block ×4, first 2 shown]
	s_or_b64 exec, exec, s[0:1]
	v_cmp_lt_i64_e32 vcc, v[13:14], v[15:16]
	s_and_saveexec_b64 s[0:1], vcc
	s_cbranch_execz .LBB22_23
.LBB22_27:
	s_movk_i32 s19, 0x7f
	v_mad_u64_u32 v[17:18], s[16:17], v15, s19, v[13:14]
	v_mov_b32_e32 v22, s3
	s_waitcnt vmcnt(0)
	v_mad_u64_u32 v[20:21], s[16:17], v16, s19, v[18:19]
	v_mov_b32_e32 v18, v20
	v_lshrrev_b64 v[17:18], 7, v[17:18]
	v_lshlrev_b64 v[20:21], 2, v[17:18]
	v_add_co_u32_e32 v20, vcc, s2, v20
	v_addc_co_u32_e32 v21, vcc, v22, v21, vcc
	global_load_dword v20, v[20:21], off
	v_add_co_u32_e32 v21, vcc, 1, v17
	v_addc_co_u32_e32 v22, vcc, 0, v18, vcc
	s_waitcnt vmcnt(0)
	v_cmp_lt_i32_e32 vcc, v20, v19
	v_cndmask_b32_e32 v14, v14, v22, vcc
	v_cndmask_b32_e32 v13, v13, v21, vcc
	;; [unrolled: 1-line block ×4, first 2 shown]
	s_or_b64 exec, exec, s[0:1]
	v_cmp_lt_i64_e32 vcc, v[13:14], v[15:16]
	s_and_saveexec_b64 s[0:1], vcc
	s_cbranch_execz .LBB22_24
.LBB22_28:
	v_mad_u64_u32 v[17:18], s[16:17], v15, 31, v[13:14]
	v_mov_b32_e32 v22, s3
	s_waitcnt vmcnt(0)
	v_mad_u64_u32 v[20:21], s[16:17], v16, 31, v[18:19]
	v_mov_b32_e32 v18, v20
	v_lshrrev_b64 v[17:18], 5, v[17:18]
	v_lshlrev_b64 v[20:21], 2, v[17:18]
	v_add_co_u32_e32 v20, vcc, s2, v20
	v_addc_co_u32_e32 v21, vcc, v22, v21, vcc
	global_load_dword v20, v[20:21], off
	v_add_co_u32_e32 v21, vcc, 1, v17
	v_addc_co_u32_e32 v22, vcc, 0, v18, vcc
	s_waitcnt vmcnt(0)
	v_cmp_lt_i32_e32 vcc, v20, v19
	v_cndmask_b32_e32 v14, v14, v22, vcc
	v_cndmask_b32_e32 v13, v13, v21, vcc
	;; [unrolled: 1-line block ×4, first 2 shown]
	s_or_b64 exec, exec, s[0:1]
	v_cmp_lt_i64_e32 vcc, v[13:14], v[15:16]
	s_and_saveexec_b64 s[0:1], vcc
	s_cbranch_execz .LBB22_25
.LBB22_29:
	v_mad_u64_u32 v[17:18], s[16:17], v15, 15, v[13:14]
	v_mov_b32_e32 v22, s3
	s_waitcnt vmcnt(0)
	v_mad_u64_u32 v[20:21], s[16:17], v16, 15, v[18:19]
	v_mov_b32_e32 v18, v20
	v_lshrrev_b64 v[17:18], 4, v[17:18]
	v_lshlrev_b64 v[20:21], 2, v[17:18]
	v_add_co_u32_e32 v20, vcc, s2, v20
	v_addc_co_u32_e32 v21, vcc, v22, v21, vcc
	global_load_dword v20, v[20:21], off
	v_add_co_u32_e32 v21, vcc, 1, v17
	v_addc_co_u32_e32 v22, vcc, 0, v18, vcc
	s_waitcnt vmcnt(0)
	v_cmp_lt_i32_e32 vcc, v20, v19
	v_cndmask_b32_e32 v14, v14, v22, vcc
	v_cndmask_b32_e32 v13, v13, v21, vcc
	;; [unrolled: 1-line block ×4, first 2 shown]
	s_or_b64 exec, exec, s[0:1]
	v_cmp_lt_i64_e32 vcc, v[13:14], v[15:16]
	s_and_saveexec_b64 s[0:1], vcc
	s_cbranch_execz .LBB22_33
.LBB22_30:
	s_mov_b64 s[16:17], 0
	v_mov_b32_e32 v17, s3
.LBB22_31:                              ; =>This Inner Loop Header: Depth=1
	v_add_co_u32_e32 v20, vcc, v13, v15
	v_addc_co_u32_e32 v21, vcc, v14, v16, vcc
	v_lshrrev_b64 v[20:21], 1, v[20:21]
	v_lshlrev_b64 v[22:23], 2, v[20:21]
	v_add_co_u32_e32 v22, vcc, s2, v22
	v_addc_co_u32_e32 v23, vcc, v17, v23, vcc
	global_load_dword v18, v[22:23], off
	v_add_co_u32_e32 v22, vcc, 1, v20
	v_addc_co_u32_e32 v23, vcc, 0, v21, vcc
	s_waitcnt vmcnt(0)
	v_cmp_lt_i32_e32 vcc, v18, v19
	v_cndmask_b32_e32 v14, v14, v23, vcc
	v_cndmask_b32_e32 v13, v13, v22, vcc
	;; [unrolled: 1-line block ×4, first 2 shown]
	v_cmp_ge_i64_e32 vcc, v[13:14], v[15:16]
	s_or_b64 s[16:17], vcc, s[16:17]
	s_andn2_b64 exec, exec, s[16:17]
	s_cbranch_execnz .LBB22_31
; %bb.32:
	s_or_b64 exec, exec, s[16:17]
.LBB22_33:
	s_or_b64 exec, exec, s[0:1]
	v_sub_co_u32_e32 v1, vcc, v1, v7
	v_subb_co_u32_e32 v2, vcc, v2, v8, vcc
	v_sub_co_u32_e32 v17, vcc, v11, v13
	v_subb_co_u32_e32 v18, vcc, v12, v14, vcc
	v_add_co_u32_e32 v15, vcc, v17, v1
	v_addc_co_u32_e32 v16, vcc, v18, v2, vcc
	v_ashrrev_i64 v[1:2], 1, v[15:16]
	v_mov_b32_e32 v20, s11
	v_cmp_gt_i64_e32 vcc, v[1:2], v[17:18]
	v_cndmask_b32_e32 v1, v17, v1, vcc
	v_cndmask_b32_e32 v2, v18, v2, vcc
	v_add_co_u32_e32 v13, vcc, v13, v1
	v_addc_co_u32_e32 v14, vcc, v14, v2, vcc
	v_add_co_u32_e32 v13, vcc, 1, v13
	v_addc_co_u32_e32 v14, vcc, 0, v14, vcc
	v_cmp_gt_i64_e32 vcc, s[10:11], v[13:14]
	v_cndmask_b32_e32 v14, v20, v14, vcc
	v_mov_b32_e32 v20, s10
	v_cndmask_b32_e32 v13, v20, v13, vcc
	v_sub_co_u32_e32 v13, vcc, v13, v11
	v_subb_co_u32_e32 v14, vcc, v14, v12, vcc
	v_mov_b32_e32 v11, 0
	v_cmp_lt_i64_e32 vcc, 0, v[13:14]
	v_mov_b32_e32 v12, 0
	s_and_saveexec_b64 s[0:1], vcc
	s_cbranch_execz .LBB22_37
; %bb.34:
	v_mov_b32_e32 v11, 0
	v_mov_b32_e32 v12, 0
	s_mov_b64 s[16:17], 0
.LBB22_35:                              ; =>This Inner Loop Header: Depth=1
	v_add_co_u32_e32 v20, vcc, v11, v13
	v_addc_co_u32_e32 v21, vcc, v12, v14, vcc
	v_lshrrev_b64 v[20:21], 1, v[20:21]
	v_lshlrev_b64 v[22:23], 2, v[20:21]
	v_add_co_u32_e32 v22, vcc, v9, v22
	v_addc_co_u32_e32 v23, vcc, v10, v23, vcc
	global_load_dword v22, v[22:23], off
	v_add_co_u32_e32 v23, vcc, 1, v20
	v_addc_co_u32_e32 v24, vcc, 0, v21, vcc
	s_waitcnt vmcnt(0)
	v_cmp_lt_i32_e32 vcc, v19, v22
	v_cndmask_b32_e32 v12, v24, v12, vcc
	v_cndmask_b32_e32 v11, v23, v11, vcc
	;; [unrolled: 1-line block ×4, first 2 shown]
	v_cmp_ge_i64_e32 vcc, v[11:12], v[13:14]
	s_or_b64 s[16:17], vcc, s[16:17]
	s_andn2_b64 exec, exec, s[16:17]
	s_cbranch_execnz .LBB22_35
; %bb.36:
	s_or_b64 exec, exec, s[16:17]
	v_ashrrev_i32_e32 v12, 31, v11
.LBB22_37:
	s_or_b64 exec, exec, s[0:1]
	v_add_co_u32_e32 v9, vcc, v11, v17
	v_addc_co_u32_e32 v10, vcc, v12, v18, vcc
	v_cmp_lt_i64_e32 vcc, v[9:10], v[1:2]
	v_cmp_lt_i64_e64 s[0:1], v[1:2], v[9:10]
	v_cndmask_b32_e32 v13, v1, v9, vcc
	v_cndmask_b32_e32 v14, v2, v10, vcc
	v_sub_co_u32_e32 v11, vcc, v15, v13
	v_subb_co_u32_e32 v12, vcc, v16, v14, vcc
	v_add_co_u32_e32 v13, vcc, 1, v13
	v_addc_co_u32_e32 v14, vcc, 0, v14, vcc
	v_cmp_eq_u64_e32 vcc, v[11:12], v[13:14]
	s_and_b64 s[0:1], vcc, s[0:1]
	v_cndmask_b32_e64 v9, 0, 1, s[0:1]
	s_mov_b32 s0, 0
	v_add_co_u32_e32 v1, vcc, v11, v7
	v_mov_b32_e32 v10, s0
	v_addc_co_u32_e32 v2, vcc, v12, v8, vcc
.LBB22_38:
	s_or_b64 exec, exec, s[6:7]
	v_lshlrev_b64 v[3:4], 4, v[3:4]
	v_mov_b32_e32 v8, s13
	v_add_co_u32_e32 v7, vcc, s12, v3
	v_addc_co_u32_e32 v8, vcc, v8, v4, vcc
	v_add_co_u32_e32 v3, vcc, v9, v5
	v_addc_co_u32_e32 v4, vcc, v10, v6, vcc
	v_sub_co_u32_e32 v3, vcc, v3, v1
	v_subb_co_u32_e32 v4, vcc, v4, v2, vcc
	global_store_dwordx4 v[7:8], v[1:4], off
.LBB22_39:
	s_or_b64 exec, exec, s[4:5]
	s_cbranch_execnz .LBB22_2
.LBB22_40:
	v_add_u32_e32 v2, s18, v0
	s_movk_i32 s0, 0xfff
	v_mad_u64_u32 v[0:1], s[0:1], v2, s0, 0
	s_add_u32 s0, s10, s8
	s_addc_u32 s1, s11, s9
	v_cmp_lt_i64_e32 vcc, s[0:1], v[0:1]
	v_mov_b32_e32 v4, s1
	v_cndmask_b32_e32 v5, v1, v4, vcc
	v_mov_b32_e32 v1, s0
	v_cndmask_b32_e32 v4, v0, v1, vcc
	v_mov_b32_e32 v1, s11
	v_subrev_co_u32_e32 v0, vcc, s10, v4
	v_subb_co_u32_e32 v1, vcc, v5, v1, vcc
	v_cmp_lt_i64_e32 vcc, 0, v[0:1]
	v_mov_b32_e32 v6, s9
	v_cndmask_b32_e32 v1, 0, v1, vcc
	v_cndmask_b32_e32 v0, 0, v0, vcc
	v_cmp_lt_i64_e32 vcc, s[8:9], v[4:5]
	v_mov_b32_e32 v3, 0
	v_cndmask_b32_e32 v7, v5, v6, vcc
	v_mov_b32_e32 v6, s8
	v_cndmask_b32_e32 v6, v4, v6, vcc
	v_cmp_lt_i64_e32 vcc, v[0:1], v[6:7]
	s_mov_b64 s[4:5], 0
	s_and_saveexec_b64 s[0:1], vcc
	s_cbranch_execz .LBB22_44
; %bb.41:
	v_lshlrev_b64 v[8:9], 2, v[4:5]
	v_mov_b32_e32 v10, s3
	v_add_co_u32_e32 v8, vcc, s2, v8
	v_addc_co_u32_e32 v9, vcc, v10, v9, vcc
.LBB22_42:                              ; =>This Inner Loop Header: Depth=1
	v_add_co_u32_e32 v10, vcc, v6, v0
	v_addc_co_u32_e32 v11, vcc, v7, v1, vcc
	v_lshrrev_b64 v[10:11], 1, v[10:11]
	v_mov_b32_e32 v15, s15
	v_lshlrev_b64 v[12:13], 2, v[10:11]
	v_add_co_u32_e32 v14, vcc, s14, v12
	v_addc_co_u32_e32 v15, vcc, v15, v13, vcc
	v_xor_b32_e32 v12, -4, v12
	v_xor_b32_e32 v13, -1, v13
	v_add_co_u32_e32 v12, vcc, v8, v12
	v_addc_co_u32_e32 v13, vcc, v9, v13, vcc
	global_load_dword v14, v[14:15], off
	s_nop 0
	global_load_dword v12, v[12:13], off
	v_add_co_u32_e32 v13, vcc, 1, v10
	v_addc_co_u32_e32 v15, vcc, 0, v11, vcc
	s_waitcnt vmcnt(0)
	v_cmp_lt_i32_e32 vcc, v12, v14
	v_cndmask_b32_e32 v7, v7, v11, vcc
	v_cndmask_b32_e32 v6, v6, v10, vcc
	;; [unrolled: 1-line block ×4, first 2 shown]
	v_cmp_ge_i64_e32 vcc, v[0:1], v[6:7]
	s_or_b64 s[4:5], vcc, s[4:5]
	s_andn2_b64 exec, exec, s[4:5]
	s_cbranch_execnz .LBB22_42
; %bb.43:
	s_or_b64 exec, exec, s[4:5]
.LBB22_44:
	s_or_b64 exec, exec, s[0:1]
	v_sub_co_u32_e32 v10, vcc, v4, v0
	v_subb_co_u32_e32 v11, vcc, v5, v1, vcc
	v_cmp_gt_i64_e32 vcc, s[10:11], v[10:11]
	v_mov_b32_e32 v8, 0
	v_mov_b32_e32 v9, 0
	s_and_saveexec_b64 s[4:5], vcc
	s_cbranch_execz .LBB22_74
; %bb.45:
	v_lshlrev_b64 v[6:7], 2, v[10:11]
	v_mov_b32_e32 v9, s3
	v_add_co_u32_e32 v8, vcc, s2, v6
	v_addc_co_u32_e32 v9, vcc, v9, v7, vcc
	global_load_dword v18, v[8:9], off
	v_mov_b32_e32 v6, 0
	v_cmp_lt_i64_e32 vcc, 0, v[0:1]
	v_mov_b32_e32 v12, 0
	v_mov_b32_e32 v7, 0
	;; [unrolled: 1-line block ×3, first 2 shown]
	s_and_saveexec_b64 s[0:1], vcc
	s_cbranch_execnz .LBB22_50
; %bb.46:
	s_or_b64 exec, exec, s[0:1]
	v_cmp_lt_u64_e32 vcc, v[6:7], v[12:13]
	s_and_saveexec_b64 s[0:1], vcc
	s_cbranch_execnz .LBB22_51
.LBB22_47:
	s_or_b64 exec, exec, s[0:1]
	v_cmp_lt_u64_e32 vcc, v[6:7], v[12:13]
	s_and_saveexec_b64 s[0:1], vcc
	s_cbranch_execnz .LBB22_52
.LBB22_48:
	s_or_b64 exec, exec, s[0:1]
	v_cmp_lt_u64_e32 vcc, v[6:7], v[12:13]
	s_and_saveexec_b64 s[0:1], vcc
	s_cbranch_execnz .LBB22_53
.LBB22_49:
	s_or_b64 exec, exec, s[0:1]
	v_cmp_lt_u64_e32 vcc, v[6:7], v[12:13]
	s_and_saveexec_b64 s[0:1], vcc
	s_cbranch_execnz .LBB22_54
	s_branch .LBB22_57
.LBB22_50:
	s_movk_i32 s8, 0x1ff
	v_mad_u64_u32 v[6:7], s[6:7], v0, s8, 0
	v_mov_b32_e32 v14, s15
	v_mad_u64_u32 v[12:13], s[6:7], v1, s8, v[7:8]
	v_mov_b32_e32 v7, v12
	v_lshrrev_b64 v[12:13], 9, v[6:7]
	v_lshlrev_b64 v[6:7], 2, v[12:13]
	v_add_co_u32_e32 v6, vcc, s14, v6
	v_addc_co_u32_e32 v7, vcc, v14, v7, vcc
	global_load_dword v6, v[6:7], off
	v_add_co_u32_e32 v14, vcc, 1, v12
	v_addc_co_u32_e32 v7, vcc, 0, v13, vcc
	s_waitcnt vmcnt(0)
	v_cmp_lt_i32_e32 vcc, v6, v18
	v_cndmask_b32_e32 v7, 0, v7, vcc
	v_cndmask_b32_e32 v6, 0, v14, vcc
	;; [unrolled: 1-line block ×4, first 2 shown]
	s_or_b64 exec, exec, s[0:1]
	v_cmp_lt_u64_e32 vcc, v[6:7], v[12:13]
	s_and_saveexec_b64 s[0:1], vcc
	s_cbranch_execz .LBB22_47
.LBB22_51:
	s_movk_i32 s8, 0x7f
	v_mad_u64_u32 v[14:15], s[6:7], v12, s8, v[6:7]
	s_waitcnt vmcnt(2)
	v_mov_b32_e32 v19, s15
	v_mad_u64_u32 v[15:16], s[6:7], v13, s8, v[15:16]
	v_lshrrev_b64 v[14:15], 7, v[14:15]
	v_lshlrev_b64 v[16:17], 2, v[14:15]
	v_add_co_u32_e32 v16, vcc, s14, v16
	v_addc_co_u32_e32 v17, vcc, v19, v17, vcc
	global_load_dword v16, v[16:17], off
	v_add_co_u32_e32 v17, vcc, 1, v14
	v_addc_co_u32_e32 v19, vcc, 0, v15, vcc
	s_waitcnt vmcnt(0)
	v_cmp_lt_i32_e32 vcc, v16, v18
	v_cndmask_b32_e32 v7, v7, v19, vcc
	v_cndmask_b32_e32 v6, v6, v17, vcc
	;; [unrolled: 1-line block ×4, first 2 shown]
	s_or_b64 exec, exec, s[0:1]
	v_cmp_lt_u64_e32 vcc, v[6:7], v[12:13]
	s_and_saveexec_b64 s[0:1], vcc
	s_cbranch_execz .LBB22_48
.LBB22_52:
	v_mad_u64_u32 v[14:15], s[6:7], v12, 31, v[6:7]
	s_waitcnt vmcnt(2)
	v_mov_b32_e32 v19, s15
	v_mad_u64_u32 v[15:16], s[6:7], v13, 31, v[15:16]
	v_lshrrev_b64 v[14:15], 5, v[14:15]
	v_lshlrev_b64 v[16:17], 2, v[14:15]
	v_add_co_u32_e32 v16, vcc, s14, v16
	v_addc_co_u32_e32 v17, vcc, v19, v17, vcc
	global_load_dword v16, v[16:17], off
	v_add_co_u32_e32 v17, vcc, 1, v14
	v_addc_co_u32_e32 v19, vcc, 0, v15, vcc
	s_waitcnt vmcnt(0)
	v_cmp_lt_i32_e32 vcc, v16, v18
	v_cndmask_b32_e32 v7, v7, v19, vcc
	v_cndmask_b32_e32 v6, v6, v17, vcc
	;; [unrolled: 1-line block ×4, first 2 shown]
	s_or_b64 exec, exec, s[0:1]
	v_cmp_lt_u64_e32 vcc, v[6:7], v[12:13]
	s_and_saveexec_b64 s[0:1], vcc
	s_cbranch_execz .LBB22_49
.LBB22_53:
	v_mad_u64_u32 v[14:15], s[6:7], v12, 15, v[6:7]
	s_waitcnt vmcnt(2)
	v_mov_b32_e32 v19, s15
	v_mad_u64_u32 v[15:16], s[6:7], v13, 15, v[15:16]
	v_lshrrev_b64 v[14:15], 4, v[14:15]
	v_lshlrev_b64 v[16:17], 2, v[14:15]
	v_add_co_u32_e32 v16, vcc, s14, v16
	v_addc_co_u32_e32 v17, vcc, v19, v17, vcc
	global_load_dword v16, v[16:17], off
	v_add_co_u32_e32 v17, vcc, 1, v14
	v_addc_co_u32_e32 v19, vcc, 0, v15, vcc
	s_waitcnt vmcnt(0)
	v_cmp_lt_i32_e32 vcc, v16, v18
	v_cndmask_b32_e32 v7, v7, v19, vcc
	v_cndmask_b32_e32 v6, v6, v17, vcc
	;; [unrolled: 1-line block ×4, first 2 shown]
	s_or_b64 exec, exec, s[0:1]
	v_cmp_lt_u64_e32 vcc, v[6:7], v[12:13]
	s_and_saveexec_b64 s[0:1], vcc
	s_cbranch_execz .LBB22_57
.LBB22_54:
	s_mov_b64 s[6:7], 0
	v_mov_b32_e32 v14, s15
.LBB22_55:                              ; =>This Inner Loop Header: Depth=1
	v_add_co_u32_e32 v15, vcc, v6, v12
	v_addc_co_u32_e32 v16, vcc, v7, v13, vcc
	v_lshrrev_b64 v[15:16], 1, v[15:16]
	s_waitcnt vmcnt(2)
	v_lshlrev_b64 v[19:20], 2, v[15:16]
	v_add_co_u32_e32 v19, vcc, s14, v19
	v_addc_co_u32_e32 v20, vcc, v14, v20, vcc
	global_load_dword v17, v[19:20], off
	v_add_co_u32_e32 v19, vcc, 1, v15
	v_addc_co_u32_e32 v20, vcc, 0, v16, vcc
	s_waitcnt vmcnt(0)
	v_cmp_lt_i32_e32 vcc, v17, v18
	v_cndmask_b32_e32 v7, v7, v20, vcc
	v_cndmask_b32_e32 v6, v6, v19, vcc
	;; [unrolled: 1-line block ×4, first 2 shown]
	v_cmp_ge_i64_e32 vcc, v[6:7], v[12:13]
	s_or_b64 s[6:7], vcc, s[6:7]
	s_andn2_b64 exec, exec, s[6:7]
	s_cbranch_execnz .LBB22_55
; %bb.56:
	s_or_b64 exec, exec, s[6:7]
.LBB22_57:
	s_or_b64 exec, exec, s[0:1]
	v_mov_b32_e32 v12, 0
	v_cmp_lt_i64_e32 vcc, 0, v[10:11]
	v_mov_b32_e32 v15, v11
	v_mov_b32_e32 v13, 0
	;; [unrolled: 1-line block ×3, first 2 shown]
	s_and_saveexec_b64 s[0:1], vcc
	s_cbranch_execnz .LBB22_62
; %bb.58:
	s_or_b64 exec, exec, s[0:1]
	v_cmp_lt_i64_e32 vcc, v[12:13], v[14:15]
	s_and_saveexec_b64 s[0:1], vcc
	s_cbranch_execnz .LBB22_63
.LBB22_59:
	s_or_b64 exec, exec, s[0:1]
	v_cmp_lt_i64_e32 vcc, v[12:13], v[14:15]
	s_and_saveexec_b64 s[0:1], vcc
	s_cbranch_execnz .LBB22_64
.LBB22_60:
	s_or_b64 exec, exec, s[0:1]
	v_cmp_lt_i64_e32 vcc, v[12:13], v[14:15]
	s_and_saveexec_b64 s[0:1], vcc
	s_cbranch_execnz .LBB22_65
.LBB22_61:
	s_or_b64 exec, exec, s[0:1]
	v_cmp_lt_i64_e32 vcc, v[12:13], v[14:15]
	s_and_saveexec_b64 s[0:1], vcc
	s_cbranch_execnz .LBB22_66
	s_branch .LBB22_69
.LBB22_62:
	s_movk_i32 s8, 0x1ff
	v_mad_u64_u32 v[12:13], s[6:7], v10, s8, 0
	v_mov_b32_e32 v16, s3
	v_mad_u64_u32 v[13:14], s[6:7], v11, s8, v[13:14]
	v_lshrrev_b64 v[14:15], 9, v[12:13]
	v_lshlrev_b64 v[12:13], 2, v[14:15]
	v_add_co_u32_e32 v12, vcc, s2, v12
	v_addc_co_u32_e32 v13, vcc, v16, v13, vcc
	global_load_dword v12, v[12:13], off
	v_add_co_u32_e32 v16, vcc, 1, v14
	v_addc_co_u32_e32 v13, vcc, 0, v15, vcc
	s_waitcnt vmcnt(0)
	v_cmp_lt_i32_e32 vcc, v12, v18
	v_cndmask_b32_e32 v13, 0, v13, vcc
	v_cndmask_b32_e32 v12, 0, v16, vcc
	;; [unrolled: 1-line block ×4, first 2 shown]
	s_or_b64 exec, exec, s[0:1]
	v_cmp_lt_i64_e32 vcc, v[12:13], v[14:15]
	s_and_saveexec_b64 s[0:1], vcc
	s_cbranch_execz .LBB22_59
.LBB22_63:
	s_movk_i32 s8, 0x7f
	v_mad_u64_u32 v[16:17], s[6:7], v14, s8, v[12:13]
	v_mov_b32_e32 v21, s3
	s_waitcnt vmcnt(0)
	v_mad_u64_u32 v[19:20], s[6:7], v15, s8, v[17:18]
	v_mov_b32_e32 v17, v19
	v_lshrrev_b64 v[16:17], 7, v[16:17]
	v_lshlrev_b64 v[19:20], 2, v[16:17]
	v_add_co_u32_e32 v19, vcc, s2, v19
	v_addc_co_u32_e32 v20, vcc, v21, v20, vcc
	global_load_dword v19, v[19:20], off
	v_add_co_u32_e32 v20, vcc, 1, v16
	v_addc_co_u32_e32 v21, vcc, 0, v17, vcc
	s_waitcnt vmcnt(0)
	v_cmp_lt_i32_e32 vcc, v19, v18
	v_cndmask_b32_e32 v13, v13, v21, vcc
	v_cndmask_b32_e32 v12, v12, v20, vcc
	;; [unrolled: 1-line block ×4, first 2 shown]
	s_or_b64 exec, exec, s[0:1]
	v_cmp_lt_i64_e32 vcc, v[12:13], v[14:15]
	s_and_saveexec_b64 s[0:1], vcc
	s_cbranch_execz .LBB22_60
.LBB22_64:
	v_mad_u64_u32 v[16:17], s[6:7], v14, 31, v[12:13]
	v_mov_b32_e32 v21, s3
	s_waitcnt vmcnt(0)
	v_mad_u64_u32 v[19:20], s[6:7], v15, 31, v[17:18]
	v_mov_b32_e32 v17, v19
	v_lshrrev_b64 v[16:17], 5, v[16:17]
	v_lshlrev_b64 v[19:20], 2, v[16:17]
	v_add_co_u32_e32 v19, vcc, s2, v19
	v_addc_co_u32_e32 v20, vcc, v21, v20, vcc
	global_load_dword v19, v[19:20], off
	v_add_co_u32_e32 v20, vcc, 1, v16
	v_addc_co_u32_e32 v21, vcc, 0, v17, vcc
	s_waitcnt vmcnt(0)
	v_cmp_lt_i32_e32 vcc, v19, v18
	v_cndmask_b32_e32 v13, v13, v21, vcc
	v_cndmask_b32_e32 v12, v12, v20, vcc
	;; [unrolled: 1-line block ×4, first 2 shown]
	s_or_b64 exec, exec, s[0:1]
	v_cmp_lt_i64_e32 vcc, v[12:13], v[14:15]
	s_and_saveexec_b64 s[0:1], vcc
	s_cbranch_execz .LBB22_61
.LBB22_65:
	v_mad_u64_u32 v[16:17], s[6:7], v14, 15, v[12:13]
	v_mov_b32_e32 v21, s3
	s_waitcnt vmcnt(0)
	v_mad_u64_u32 v[19:20], s[6:7], v15, 15, v[17:18]
	v_mov_b32_e32 v17, v19
	v_lshrrev_b64 v[16:17], 4, v[16:17]
	v_lshlrev_b64 v[19:20], 2, v[16:17]
	v_add_co_u32_e32 v19, vcc, s2, v19
	v_addc_co_u32_e32 v20, vcc, v21, v20, vcc
	global_load_dword v19, v[19:20], off
	v_add_co_u32_e32 v20, vcc, 1, v16
	v_addc_co_u32_e32 v21, vcc, 0, v17, vcc
	s_waitcnt vmcnt(0)
	v_cmp_lt_i32_e32 vcc, v19, v18
	v_cndmask_b32_e32 v13, v13, v21, vcc
	v_cndmask_b32_e32 v12, v12, v20, vcc
	;; [unrolled: 1-line block ×4, first 2 shown]
	s_or_b64 exec, exec, s[0:1]
	v_cmp_lt_i64_e32 vcc, v[12:13], v[14:15]
	s_and_saveexec_b64 s[0:1], vcc
	s_cbranch_execz .LBB22_69
.LBB22_66:
	s_mov_b64 s[6:7], 0
	v_mov_b32_e32 v16, s3
.LBB22_67:                              ; =>This Inner Loop Header: Depth=1
	s_waitcnt vmcnt(2)
	v_add_co_u32_e32 v19, vcc, v12, v14
	v_addc_co_u32_e32 v20, vcc, v13, v15, vcc
	v_lshrrev_b64 v[19:20], 1, v[19:20]
	v_lshlrev_b64 v[21:22], 2, v[19:20]
	v_add_co_u32_e32 v21, vcc, s2, v21
	v_addc_co_u32_e32 v22, vcc, v16, v22, vcc
	global_load_dword v17, v[21:22], off
	v_add_co_u32_e32 v21, vcc, 1, v19
	v_addc_co_u32_e32 v22, vcc, 0, v20, vcc
	s_waitcnt vmcnt(0)
	v_cmp_lt_i32_e32 vcc, v17, v18
	v_cndmask_b32_e32 v13, v13, v22, vcc
	v_cndmask_b32_e32 v12, v12, v21, vcc
	;; [unrolled: 1-line block ×4, first 2 shown]
	v_cmp_ge_i64_e32 vcc, v[12:13], v[14:15]
	s_or_b64 s[6:7], vcc, s[6:7]
	s_andn2_b64 exec, exec, s[6:7]
	s_cbranch_execnz .LBB22_67
; %bb.68:
	s_or_b64 exec, exec, s[6:7]
.LBB22_69:
	s_or_b64 exec, exec, s[0:1]
	v_sub_co_u32_e32 v0, vcc, v0, v6
	v_subb_co_u32_e32 v1, vcc, v1, v7, vcc
	v_sub_co_u32_e32 v16, vcc, v10, v12
	v_subb_co_u32_e32 v17, vcc, v11, v13, vcc
	v_add_co_u32_e32 v14, vcc, v16, v0
	v_addc_co_u32_e32 v15, vcc, v17, v1, vcc
	v_ashrrev_i64 v[0:1], 1, v[14:15]
	s_waitcnt vmcnt(2)
	v_mov_b32_e32 v19, s11
	v_cmp_gt_i64_e32 vcc, v[0:1], v[16:17]
	v_cndmask_b32_e32 v0, v16, v0, vcc
	v_cndmask_b32_e32 v1, v17, v1, vcc
	v_add_co_u32_e32 v12, vcc, v12, v0
	v_addc_co_u32_e32 v13, vcc, v13, v1, vcc
	v_add_co_u32_e32 v12, vcc, 1, v12
	v_addc_co_u32_e32 v13, vcc, 0, v13, vcc
	v_cmp_gt_i64_e32 vcc, s[10:11], v[12:13]
	v_cndmask_b32_e32 v13, v19, v13, vcc
	v_mov_b32_e32 v19, s10
	v_cndmask_b32_e32 v12, v19, v12, vcc
	v_sub_co_u32_e32 v12, vcc, v12, v10
	v_subb_co_u32_e32 v13, vcc, v13, v11, vcc
	v_mov_b32_e32 v10, 0
	v_cmp_lt_i64_e32 vcc, 0, v[12:13]
	v_mov_b32_e32 v11, 0
	s_and_saveexec_b64 s[0:1], vcc
	s_cbranch_execz .LBB22_73
; %bb.70:
	v_mov_b32_e32 v10, 0
	v_mov_b32_e32 v11, 0
	s_mov_b64 s[2:3], 0
.LBB22_71:                              ; =>This Inner Loop Header: Depth=1
	v_add_co_u32_e32 v19, vcc, v10, v12
	v_addc_co_u32_e32 v20, vcc, v11, v13, vcc
	v_lshrrev_b64 v[19:20], 1, v[19:20]
	v_lshlrev_b64 v[21:22], 2, v[19:20]
	v_add_co_u32_e32 v21, vcc, v8, v21
	v_addc_co_u32_e32 v22, vcc, v9, v22, vcc
	global_load_dword v21, v[21:22], off
	v_add_co_u32_e32 v22, vcc, 1, v19
	v_addc_co_u32_e32 v23, vcc, 0, v20, vcc
	s_waitcnt vmcnt(0)
	v_cmp_lt_i32_e32 vcc, v18, v21
	v_cndmask_b32_e32 v11, v23, v11, vcc
	v_cndmask_b32_e32 v10, v22, v10, vcc
	;; [unrolled: 1-line block ×4, first 2 shown]
	v_cmp_ge_i64_e32 vcc, v[10:11], v[12:13]
	s_or_b64 s[2:3], vcc, s[2:3]
	s_andn2_b64 exec, exec, s[2:3]
	s_cbranch_execnz .LBB22_71
; %bb.72:
	s_or_b64 exec, exec, s[2:3]
	v_ashrrev_i32_e32 v11, 31, v10
.LBB22_73:
	s_or_b64 exec, exec, s[0:1]
	v_add_co_u32_e32 v8, vcc, v10, v16
	v_addc_co_u32_e32 v9, vcc, v11, v17, vcc
	v_cmp_lt_i64_e32 vcc, v[8:9], v[0:1]
	v_cmp_lt_i64_e64 s[0:1], v[0:1], v[8:9]
	v_cndmask_b32_e32 v12, v0, v8, vcc
	v_cndmask_b32_e32 v13, v1, v9, vcc
	v_sub_co_u32_e32 v10, vcc, v14, v12
	v_subb_co_u32_e32 v11, vcc, v15, v13, vcc
	v_add_co_u32_e32 v12, vcc, 1, v12
	v_addc_co_u32_e32 v13, vcc, 0, v13, vcc
	v_cmp_eq_u64_e32 vcc, v[10:11], v[12:13]
	s_and_b64 s[0:1], vcc, s[0:1]
	v_cndmask_b32_e64 v8, 0, 1, s[0:1]
	s_mov_b32 s0, 0
	v_add_co_u32_e32 v0, vcc, v10, v6
	v_mov_b32_e32 v9, s0
	v_addc_co_u32_e32 v1, vcc, v11, v7, vcc
.LBB22_74:
	s_or_b64 exec, exec, s[4:5]
	v_lshlrev_b64 v[2:3], 4, v[2:3]
	v_mov_b32_e32 v7, s13
	v_add_co_u32_e32 v6, vcc, s12, v2
	v_addc_co_u32_e32 v7, vcc, v7, v3, vcc
	v_add_co_u32_e32 v2, vcc, v8, v4
	v_addc_co_u32_e32 v3, vcc, v9, v5, vcc
	v_sub_co_u32_e32 v2, vcc, v2, v0
	v_subb_co_u32_e32 v3, vcc, v3, v1, vcc
	global_store_dwordx4 v[6:7], v[0:3], off
	s_endpgm
	.section	.rodata,"a",@progbits
	.p2align	6, 0x0
	.amdhsa_kernel _ZN6thrust23THRUST_200600_302600_NS11hip_rocprim14__parallel_for6kernelILj256EZNS1_16__set_operations9doit_stepILb0ENS0_6detail15normal_iteratorINS0_10device_ptrIKiEEEESB_PiSC_lNS7_INS8_IiEEEESC_NS0_4lessIiEENS4_23serial_set_intersectionEEE10hipError_tPvRmT0_T1_T2_T3_T4_SP_T5_T6_PSP_T7_T8_P12ihipStream_tbEUllE_jLj1EEEvSL_SM_SM_
		.amdhsa_group_segment_fixed_size 0
		.amdhsa_private_segment_fixed_size 0
		.amdhsa_kernarg_size 56
		.amdhsa_user_sgpr_count 6
		.amdhsa_user_sgpr_private_segment_buffer 1
		.amdhsa_user_sgpr_dispatch_ptr 0
		.amdhsa_user_sgpr_queue_ptr 0
		.amdhsa_user_sgpr_kernarg_segment_ptr 1
		.amdhsa_user_sgpr_dispatch_id 0
		.amdhsa_user_sgpr_flat_scratch_init 0
		.amdhsa_user_sgpr_private_segment_size 0
		.amdhsa_uses_dynamic_stack 0
		.amdhsa_system_sgpr_private_segment_wavefront_offset 0
		.amdhsa_system_sgpr_workgroup_id_x 1
		.amdhsa_system_sgpr_workgroup_id_y 0
		.amdhsa_system_sgpr_workgroup_id_z 0
		.amdhsa_system_sgpr_workgroup_info 0
		.amdhsa_system_vgpr_workitem_id 0
		.amdhsa_next_free_vgpr 25
		.amdhsa_next_free_sgpr 20
		.amdhsa_reserve_vcc 1
		.amdhsa_reserve_flat_scratch 0
		.amdhsa_float_round_mode_32 0
		.amdhsa_float_round_mode_16_64 0
		.amdhsa_float_denorm_mode_32 3
		.amdhsa_float_denorm_mode_16_64 3
		.amdhsa_dx10_clamp 1
		.amdhsa_ieee_mode 1
		.amdhsa_fp16_overflow 0
		.amdhsa_exception_fp_ieee_invalid_op 0
		.amdhsa_exception_fp_denorm_src 0
		.amdhsa_exception_fp_ieee_div_zero 0
		.amdhsa_exception_fp_ieee_overflow 0
		.amdhsa_exception_fp_ieee_underflow 0
		.amdhsa_exception_fp_ieee_inexact 0
		.amdhsa_exception_int_div_zero 0
	.end_amdhsa_kernel
	.section	.text._ZN6thrust23THRUST_200600_302600_NS11hip_rocprim14__parallel_for6kernelILj256EZNS1_16__set_operations9doit_stepILb0ENS0_6detail15normal_iteratorINS0_10device_ptrIKiEEEESB_PiSC_lNS7_INS8_IiEEEESC_NS0_4lessIiEENS4_23serial_set_intersectionEEE10hipError_tPvRmT0_T1_T2_T3_T4_SP_T5_T6_PSP_T7_T8_P12ihipStream_tbEUllE_jLj1EEEvSL_SM_SM_,"axG",@progbits,_ZN6thrust23THRUST_200600_302600_NS11hip_rocprim14__parallel_for6kernelILj256EZNS1_16__set_operations9doit_stepILb0ENS0_6detail15normal_iteratorINS0_10device_ptrIKiEEEESB_PiSC_lNS7_INS8_IiEEEESC_NS0_4lessIiEENS4_23serial_set_intersectionEEE10hipError_tPvRmT0_T1_T2_T3_T4_SP_T5_T6_PSP_T7_T8_P12ihipStream_tbEUllE_jLj1EEEvSL_SM_SM_,comdat
.Lfunc_end22:
	.size	_ZN6thrust23THRUST_200600_302600_NS11hip_rocprim14__parallel_for6kernelILj256EZNS1_16__set_operations9doit_stepILb0ENS0_6detail15normal_iteratorINS0_10device_ptrIKiEEEESB_PiSC_lNS7_INS8_IiEEEESC_NS0_4lessIiEENS4_23serial_set_intersectionEEE10hipError_tPvRmT0_T1_T2_T3_T4_SP_T5_T6_PSP_T7_T8_P12ihipStream_tbEUllE_jLj1EEEvSL_SM_SM_, .Lfunc_end22-_ZN6thrust23THRUST_200600_302600_NS11hip_rocprim14__parallel_for6kernelILj256EZNS1_16__set_operations9doit_stepILb0ENS0_6detail15normal_iteratorINS0_10device_ptrIKiEEEESB_PiSC_lNS7_INS8_IiEEEESC_NS0_4lessIiEENS4_23serial_set_intersectionEEE10hipError_tPvRmT0_T1_T2_T3_T4_SP_T5_T6_PSP_T7_T8_P12ihipStream_tbEUllE_jLj1EEEvSL_SM_SM_
                                        ; -- End function
	.set _ZN6thrust23THRUST_200600_302600_NS11hip_rocprim14__parallel_for6kernelILj256EZNS1_16__set_operations9doit_stepILb0ENS0_6detail15normal_iteratorINS0_10device_ptrIKiEEEESB_PiSC_lNS7_INS8_IiEEEESC_NS0_4lessIiEENS4_23serial_set_intersectionEEE10hipError_tPvRmT0_T1_T2_T3_T4_SP_T5_T6_PSP_T7_T8_P12ihipStream_tbEUllE_jLj1EEEvSL_SM_SM_.num_vgpr, 25
	.set _ZN6thrust23THRUST_200600_302600_NS11hip_rocprim14__parallel_for6kernelILj256EZNS1_16__set_operations9doit_stepILb0ENS0_6detail15normal_iteratorINS0_10device_ptrIKiEEEESB_PiSC_lNS7_INS8_IiEEEESC_NS0_4lessIiEENS4_23serial_set_intersectionEEE10hipError_tPvRmT0_T1_T2_T3_T4_SP_T5_T6_PSP_T7_T8_P12ihipStream_tbEUllE_jLj1EEEvSL_SM_SM_.num_agpr, 0
	.set _ZN6thrust23THRUST_200600_302600_NS11hip_rocprim14__parallel_for6kernelILj256EZNS1_16__set_operations9doit_stepILb0ENS0_6detail15normal_iteratorINS0_10device_ptrIKiEEEESB_PiSC_lNS7_INS8_IiEEEESC_NS0_4lessIiEENS4_23serial_set_intersectionEEE10hipError_tPvRmT0_T1_T2_T3_T4_SP_T5_T6_PSP_T7_T8_P12ihipStream_tbEUllE_jLj1EEEvSL_SM_SM_.numbered_sgpr, 20
	.set _ZN6thrust23THRUST_200600_302600_NS11hip_rocprim14__parallel_for6kernelILj256EZNS1_16__set_operations9doit_stepILb0ENS0_6detail15normal_iteratorINS0_10device_ptrIKiEEEESB_PiSC_lNS7_INS8_IiEEEESC_NS0_4lessIiEENS4_23serial_set_intersectionEEE10hipError_tPvRmT0_T1_T2_T3_T4_SP_T5_T6_PSP_T7_T8_P12ihipStream_tbEUllE_jLj1EEEvSL_SM_SM_.num_named_barrier, 0
	.set _ZN6thrust23THRUST_200600_302600_NS11hip_rocprim14__parallel_for6kernelILj256EZNS1_16__set_operations9doit_stepILb0ENS0_6detail15normal_iteratorINS0_10device_ptrIKiEEEESB_PiSC_lNS7_INS8_IiEEEESC_NS0_4lessIiEENS4_23serial_set_intersectionEEE10hipError_tPvRmT0_T1_T2_T3_T4_SP_T5_T6_PSP_T7_T8_P12ihipStream_tbEUllE_jLj1EEEvSL_SM_SM_.private_seg_size, 0
	.set _ZN6thrust23THRUST_200600_302600_NS11hip_rocprim14__parallel_for6kernelILj256EZNS1_16__set_operations9doit_stepILb0ENS0_6detail15normal_iteratorINS0_10device_ptrIKiEEEESB_PiSC_lNS7_INS8_IiEEEESC_NS0_4lessIiEENS4_23serial_set_intersectionEEE10hipError_tPvRmT0_T1_T2_T3_T4_SP_T5_T6_PSP_T7_T8_P12ihipStream_tbEUllE_jLj1EEEvSL_SM_SM_.uses_vcc, 1
	.set _ZN6thrust23THRUST_200600_302600_NS11hip_rocprim14__parallel_for6kernelILj256EZNS1_16__set_operations9doit_stepILb0ENS0_6detail15normal_iteratorINS0_10device_ptrIKiEEEESB_PiSC_lNS7_INS8_IiEEEESC_NS0_4lessIiEENS4_23serial_set_intersectionEEE10hipError_tPvRmT0_T1_T2_T3_T4_SP_T5_T6_PSP_T7_T8_P12ihipStream_tbEUllE_jLj1EEEvSL_SM_SM_.uses_flat_scratch, 0
	.set _ZN6thrust23THRUST_200600_302600_NS11hip_rocprim14__parallel_for6kernelILj256EZNS1_16__set_operations9doit_stepILb0ENS0_6detail15normal_iteratorINS0_10device_ptrIKiEEEESB_PiSC_lNS7_INS8_IiEEEESC_NS0_4lessIiEENS4_23serial_set_intersectionEEE10hipError_tPvRmT0_T1_T2_T3_T4_SP_T5_T6_PSP_T7_T8_P12ihipStream_tbEUllE_jLj1EEEvSL_SM_SM_.has_dyn_sized_stack, 0
	.set _ZN6thrust23THRUST_200600_302600_NS11hip_rocprim14__parallel_for6kernelILj256EZNS1_16__set_operations9doit_stepILb0ENS0_6detail15normal_iteratorINS0_10device_ptrIKiEEEESB_PiSC_lNS7_INS8_IiEEEESC_NS0_4lessIiEENS4_23serial_set_intersectionEEE10hipError_tPvRmT0_T1_T2_T3_T4_SP_T5_T6_PSP_T7_T8_P12ihipStream_tbEUllE_jLj1EEEvSL_SM_SM_.has_recursion, 0
	.set _ZN6thrust23THRUST_200600_302600_NS11hip_rocprim14__parallel_for6kernelILj256EZNS1_16__set_operations9doit_stepILb0ENS0_6detail15normal_iteratorINS0_10device_ptrIKiEEEESB_PiSC_lNS7_INS8_IiEEEESC_NS0_4lessIiEENS4_23serial_set_intersectionEEE10hipError_tPvRmT0_T1_T2_T3_T4_SP_T5_T6_PSP_T7_T8_P12ihipStream_tbEUllE_jLj1EEEvSL_SM_SM_.has_indirect_call, 0
	.section	.AMDGPU.csdata,"",@progbits
; Kernel info:
; codeLenInByte = 3912
; TotalNumSgprs: 24
; NumVgprs: 25
; ScratchSize: 0
; MemoryBound: 0
; FloatMode: 240
; IeeeMode: 1
; LDSByteSize: 0 bytes/workgroup (compile time only)
; SGPRBlocks: 2
; VGPRBlocks: 6
; NumSGPRsForWavesPerEU: 24
; NumVGPRsForWavesPerEU: 25
; Occupancy: 9
; WaveLimiterHint : 0
; COMPUTE_PGM_RSRC2:SCRATCH_EN: 0
; COMPUTE_PGM_RSRC2:USER_SGPR: 6
; COMPUTE_PGM_RSRC2:TRAP_HANDLER: 0
; COMPUTE_PGM_RSRC2:TGID_X_EN: 1
; COMPUTE_PGM_RSRC2:TGID_Y_EN: 0
; COMPUTE_PGM_RSRC2:TGID_Z_EN: 0
; COMPUTE_PGM_RSRC2:TIDIG_COMP_CNT: 0
	.section	.text._ZN6thrust23THRUST_200600_302600_NS11hip_rocprim16__set_operations22lookback_set_op_kernelIN7rocprim17ROCPRIM_400000_NS13kernel_configILj256ELj16ELj4294967295EEELb0ENS0_6detail15normal_iteratorINS0_10device_ptrIKiEEEESD_PiSE_lNS9_INSA_IiEEEESE_NS0_4lessIiEENS2_23serial_set_intersectionENS5_6detail19lookback_scan_stateIlLb0ELb1EEEEEvT1_T2_T3_T4_T6_T7_T8_T9_PNS0_4pairIT5_SW_EEPSW_T10_NSK_16ordered_block_idIjEE,"axG",@progbits,_ZN6thrust23THRUST_200600_302600_NS11hip_rocprim16__set_operations22lookback_set_op_kernelIN7rocprim17ROCPRIM_400000_NS13kernel_configILj256ELj16ELj4294967295EEELb0ENS0_6detail15normal_iteratorINS0_10device_ptrIKiEEEESD_PiSE_lNS9_INSA_IiEEEESE_NS0_4lessIiEENS2_23serial_set_intersectionENS5_6detail19lookback_scan_stateIlLb0ELb1EEEEEvT1_T2_T3_T4_T6_T7_T8_T9_PNS0_4pairIT5_SW_EEPSW_T10_NSK_16ordered_block_idIjEE,comdat
	.protected	_ZN6thrust23THRUST_200600_302600_NS11hip_rocprim16__set_operations22lookback_set_op_kernelIN7rocprim17ROCPRIM_400000_NS13kernel_configILj256ELj16ELj4294967295EEELb0ENS0_6detail15normal_iteratorINS0_10device_ptrIKiEEEESD_PiSE_lNS9_INSA_IiEEEESE_NS0_4lessIiEENS2_23serial_set_intersectionENS5_6detail19lookback_scan_stateIlLb0ELb1EEEEEvT1_T2_T3_T4_T6_T7_T8_T9_PNS0_4pairIT5_SW_EEPSW_T10_NSK_16ordered_block_idIjEE ; -- Begin function _ZN6thrust23THRUST_200600_302600_NS11hip_rocprim16__set_operations22lookback_set_op_kernelIN7rocprim17ROCPRIM_400000_NS13kernel_configILj256ELj16ELj4294967295EEELb0ENS0_6detail15normal_iteratorINS0_10device_ptrIKiEEEESD_PiSE_lNS9_INSA_IiEEEESE_NS0_4lessIiEENS2_23serial_set_intersectionENS5_6detail19lookback_scan_stateIlLb0ELb1EEEEEvT1_T2_T3_T4_T6_T7_T8_T9_PNS0_4pairIT5_SW_EEPSW_T10_NSK_16ordered_block_idIjEE
	.globl	_ZN6thrust23THRUST_200600_302600_NS11hip_rocprim16__set_operations22lookback_set_op_kernelIN7rocprim17ROCPRIM_400000_NS13kernel_configILj256ELj16ELj4294967295EEELb0ENS0_6detail15normal_iteratorINS0_10device_ptrIKiEEEESD_PiSE_lNS9_INSA_IiEEEESE_NS0_4lessIiEENS2_23serial_set_intersectionENS5_6detail19lookback_scan_stateIlLb0ELb1EEEEEvT1_T2_T3_T4_T6_T7_T8_T9_PNS0_4pairIT5_SW_EEPSW_T10_NSK_16ordered_block_idIjEE
	.p2align	8
	.type	_ZN6thrust23THRUST_200600_302600_NS11hip_rocprim16__set_operations22lookback_set_op_kernelIN7rocprim17ROCPRIM_400000_NS13kernel_configILj256ELj16ELj4294967295EEELb0ENS0_6detail15normal_iteratorINS0_10device_ptrIKiEEEESD_PiSE_lNS9_INSA_IiEEEESE_NS0_4lessIiEENS2_23serial_set_intersectionENS5_6detail19lookback_scan_stateIlLb0ELb1EEEEEvT1_T2_T3_T4_T6_T7_T8_T9_PNS0_4pairIT5_SW_EEPSW_T10_NSK_16ordered_block_idIjEE,@function
_ZN6thrust23THRUST_200600_302600_NS11hip_rocprim16__set_operations22lookback_set_op_kernelIN7rocprim17ROCPRIM_400000_NS13kernel_configILj256ELj16ELj4294967295EEELb0ENS0_6detail15normal_iteratorINS0_10device_ptrIKiEEEESD_PiSE_lNS9_INSA_IiEEEESE_NS0_4lessIiEENS2_23serial_set_intersectionENS5_6detail19lookback_scan_stateIlLb0ELb1EEEEEvT1_T2_T3_T4_T6_T7_T8_T9_PNS0_4pairIT5_SW_EEPSW_T10_NSK_16ordered_block_idIjEE: ; @_ZN6thrust23THRUST_200600_302600_NS11hip_rocprim16__set_operations22lookback_set_op_kernelIN7rocprim17ROCPRIM_400000_NS13kernel_configILj256ELj16ELj4294967295EEELb0ENS0_6detail15normal_iteratorINS0_10device_ptrIKiEEEESD_PiSE_lNS9_INSA_IiEEEESE_NS0_4lessIiEENS2_23serial_set_intersectionENS5_6detail19lookback_scan_stateIlLb0ELb1EEEEEvT1_T2_T3_T4_T6_T7_T8_T9_PNS0_4pairIT5_SW_EEPSW_T10_NSK_16ordered_block_idIjEE
; %bb.0:
	s_load_dword s0, s[4:5], 0x64
	s_load_dword s16, s[4:5], 0x58
	s_load_dwordx8 s[8:15], s[4:5], 0x38
	s_waitcnt lgkmcnt(0)
	s_lshr_b32 s1, s0, 16
	s_and_b32 s0, s0, 0xffff
	v_mad_u32_u24 v1, v2, s1, v1
	v_mul_lo_u32 v1, v1, s0
	v_sub_u32_e32 v2, 0, v0
	v_cmp_eq_u32_e32 vcc, v1, v2
	s_and_saveexec_b64 s[0:1], vcc
	s_cbranch_execz .LBB23_4
; %bb.1:
	s_mov_b64 s[6:7], exec
	v_mbcnt_lo_u32_b32 v1, s6, 0
	v_mbcnt_hi_u32_b32 v1, s7, v1
	v_cmp_eq_u32_e32 vcc, 0, v1
                                        ; implicit-def: $vgpr2
	s_and_saveexec_b64 s[2:3], vcc
	s_cbranch_execz .LBB23_3
; %bb.2:
	s_bcnt1_i32_b64 s6, s[6:7]
	v_mov_b32_e32 v2, 0
	v_mov_b32_e32 v3, s6
	global_atomic_add v2, v2, v3, s[14:15] glc
.LBB23_3:
	s_or_b64 exec, exec, s[2:3]
	s_waitcnt vmcnt(0)
	v_readfirstlane_b32 s2, v2
	v_add_u32_e32 v1, s2, v1
	v_mov_b32_e32 v2, 0
	ds_write_b32 v2, v1 offset:36864
.LBB23_4:
	s_or_b64 exec, exec, s[0:1]
	v_mov_b32_e32 v1, 0
	s_waitcnt lgkmcnt(0)
	s_barrier
	ds_read_b32 v9, v1 offset:36864
	s_add_i32 s16, s16, -1
	s_waitcnt lgkmcnt(0)
	v_readfirstlane_b32 s14, v9
	s_ashr_i32 s15, s14, 31
	s_lshl_b64 s[0:1], s[14:15], 4
	s_add_u32 s0, s8, s0
	s_addc_u32 s1, s9, s1
	global_load_dwordx4 v[2:5], v1, s[0:1] offset:16
	global_load_dwordx4 v[5:8], v1, s[0:1]
                                        ; kill: killed $sgpr0 killed $sgpr1
	s_load_dwordx4 s[0:3], s[4:5], 0x0
	s_load_dwordx2 s[6:7], s[4:5], 0x20
	v_cmp_le_i32_e32 vcc, s16, v9
	s_and_b64 vcc, exec, vcc
	s_waitcnt lgkmcnt(0)
	v_mov_b32_e32 v10, s1
	v_mov_b32_e32 v11, s3
	s_waitcnt vmcnt(0)
	v_sub_u32_e32 v18, v2, v5
	v_lshlrev_b64 v[2:3], 2, v[5:6]
	v_sub_u32_e32 v19, v4, v7
	v_lshlrev_b64 v[4:5], 2, v[7:8]
	v_add_co_u32_e64 v22, s[0:1], s0, v2
	v_addc_co_u32_e64 v23, s[0:1], v10, v3, s[0:1]
	v_add_co_u32_e64 v20, s[0:1], s2, v4
	v_addc_co_u32_e64 v21, s[0:1], v11, v5, s[0:1]
	s_mov_b64 s[0:1], -1
	s_cbranch_vccz .LBB23_243
; %bb.5:
	v_add_u32_e32 v3, v19, v18
	v_cmp_lt_i32_e32 vcc, v0, v3
	v_mov_b32_e32 v2, v1
	v_mov_b32_e32 v4, v1
	;; [unrolled: 1-line block ×15, first 2 shown]
	s_and_saveexec_b64 s[0:1], vcc
	s_cbranch_execz .LBB23_7
; %bb.6:
	v_lshlrev_b32_e32 v1, 2, v0
	v_mov_b32_e32 v2, 0
	v_add_co_u32_e32 v6, vcc, v22, v1
	v_sub_u32_e32 v1, v0, v18
	v_lshlrev_b64 v[4:5], 2, v[1:2]
	v_addc_co_u32_e32 v7, vcc, 0, v23, vcc
	v_add_co_u32_e32 v1, vcc, v20, v4
	v_addc_co_u32_e32 v4, vcc, v21, v5, vcc
	v_cmp_lt_i32_e32 vcc, v0, v18
	v_cndmask_b32_e32 v5, v4, v7, vcc
	v_cndmask_b32_e32 v4, v1, v6, vcc
	global_load_dword v1, v[4:5], off
	v_mov_b32_e32 v4, v2
	v_mov_b32_e32 v6, v2
	;; [unrolled: 1-line block ×14, first 2 shown]
.LBB23_7:
	s_or_b64 exec, exec, s[0:1]
	v_or_b32_e32 v24, 0x100, v0
	v_cmp_lt_i32_e32 vcc, v24, v3
	s_and_saveexec_b64 s[0:1], vcc
	s_cbranch_execz .LBB23_9
; %bb.8:
	v_lshlrev_b32_e32 v2, 2, v0
	v_add_co_u32_e32 v2, vcc, v22, v2
	v_addc_co_u32_e32 v25, vcc, 0, v23, vcc
	v_add_co_u32_e32 v2, vcc, 0x400, v2
	v_mov_b32_e32 v26, 0
	v_addc_co_u32_e32 v27, vcc, 0, v25, vcc
	v_sub_u32_e32 v25, v24, v18
	v_lshlrev_b64 v[25:26], 2, v[25:26]
	v_add_co_u32_e32 v28, vcc, v20, v25
	v_addc_co_u32_e32 v25, vcc, v21, v26, vcc
	v_cmp_lt_i32_e32 vcc, v24, v18
	v_cndmask_b32_e32 v25, v25, v27, vcc
	v_cndmask_b32_e32 v24, v28, v2, vcc
	global_load_dword v2, v[24:25], off
.LBB23_9:
	s_or_b64 exec, exec, s[0:1]
	v_or_b32_e32 v24, 0x200, v0
	v_cmp_lt_i32_e32 vcc, v24, v3
	s_and_saveexec_b64 s[0:1], vcc
	s_cbranch_execz .LBB23_11
; %bb.10:
	v_lshlrev_b32_e32 v4, 2, v0
	v_add_co_u32_e32 v4, vcc, v22, v4
	v_addc_co_u32_e32 v25, vcc, 0, v23, vcc
	v_add_co_u32_e32 v4, vcc, 0x800, v4
	v_mov_b32_e32 v26, 0
	v_addc_co_u32_e32 v27, vcc, 0, v25, vcc
	v_sub_u32_e32 v25, v24, v18
	v_lshlrev_b64 v[25:26], 2, v[25:26]
	v_add_co_u32_e32 v28, vcc, v20, v25
	v_addc_co_u32_e32 v25, vcc, v21, v26, vcc
	v_cmp_lt_i32_e32 vcc, v24, v18
	v_cndmask_b32_e32 v25, v25, v27, vcc
	v_cndmask_b32_e32 v24, v28, v4, vcc
	global_load_dword v4, v[24:25], off
.LBB23_11:
	;; [unrolled: 21-line block ×3, first 2 shown]
	s_or_b64 exec, exec, s[0:1]
	v_or_b32_e32 v24, 0x400, v0
	v_cmp_lt_i32_e32 vcc, v24, v3
	s_and_saveexec_b64 s[0:1], vcc
	s_cbranch_execz .LBB23_15
; %bb.14:
	v_lshlrev_b32_e32 v5, 2, v24
	v_mov_b32_e32 v26, 0
	v_sub_u32_e32 v25, v24, v18
	v_add_co_u32_e32 v5, vcc, v22, v5
	v_lshlrev_b64 v[25:26], 2, v[25:26]
	v_addc_co_u32_e32 v27, vcc, 0, v23, vcc
	v_add_co_u32_e32 v28, vcc, v20, v25
	v_addc_co_u32_e32 v25, vcc, v21, v26, vcc
	v_cmp_lt_i32_e32 vcc, v24, v18
	v_cndmask_b32_e32 v25, v25, v27, vcc
	v_cndmask_b32_e32 v24, v28, v5, vcc
	global_load_dword v5, v[24:25], off
.LBB23_15:
	s_or_b64 exec, exec, s[0:1]
	v_or_b32_e32 v24, 0x500, v0
	v_cmp_lt_i32_e32 vcc, v24, v3
	s_and_saveexec_b64 s[0:1], vcc
	s_cbranch_execz .LBB23_17
; %bb.16:
	v_lshlrev_b32_e32 v7, 2, v24
	v_mov_b32_e32 v26, 0
	v_sub_u32_e32 v25, v24, v18
	v_add_co_u32_e32 v7, vcc, v22, v7
	v_lshlrev_b64 v[25:26], 2, v[25:26]
	v_addc_co_u32_e32 v27, vcc, 0, v23, vcc
	v_add_co_u32_e32 v28, vcc, v20, v25
	v_addc_co_u32_e32 v25, vcc, v21, v26, vcc
	v_cmp_lt_i32_e32 vcc, v24, v18
	v_cndmask_b32_e32 v25, v25, v27, vcc
	v_cndmask_b32_e32 v24, v28, v7, vcc
	global_load_dword v7, v[24:25], off
.LBB23_17:
	;; [unrolled: 19-line block ×12, first 2 shown]
	s_or_b64 exec, exec, s[0:1]
	v_lshlrev_b32_e32 v24, 2, v0
	s_waitcnt vmcnt(0)
	ds_write2st64_b32 v24, v1, v2 offset0:76 offset1:80
	ds_write2st64_b32 v24, v4, v6 offset0:84 offset1:88
	;; [unrolled: 1-line block ×8, first 2 shown]
	v_lshlrev_b32_e32 v1, 4, v0
	v_min_i32_e32 v2, v3, v1
	v_lshlrev_b32_e32 v1, 2, v18
	v_add_u32_e32 v3, 0x4800, v1
	v_sub_u32_e32 v1, v2, v19
	v_max_i32_e32 v1, 0, v1
	v_min_i32_e32 v4, v18, v2
	v_cmp_lt_i32_e32 vcc, v1, v4
	s_waitcnt lgkmcnt(0)
	s_barrier
	s_and_saveexec_b64 s[0:1], vcc
	s_cbranch_execz .LBB23_41
; %bb.38:
	v_lshl_add_u32 v5, v2, 2, v3
	v_add_u32_e32 v5, 0x400, v5
	s_mov_b64 s[2:3], 0
.LBB23_39:                              ; =>This Inner Loop Header: Depth=1
	v_add_u32_e32 v6, v4, v1
	v_lshrrev_b32_e32 v6, 1, v6
	v_not_b32_e32 v8, v6
	v_lshlrev_b32_e32 v7, 2, v6
	v_lshl_add_u32 v8, v8, 2, v5
	ds_read_b32 v7, v7 offset:19456
	ds_read_b32 v8, v8
	v_add_u32_e32 v9, 1, v6
	s_waitcnt lgkmcnt(0)
	v_cmp_lt_i32_e32 vcc, v8, v7
	v_cndmask_b32_e32 v4, v4, v6, vcc
	v_cndmask_b32_e32 v1, v9, v1, vcc
	v_cmp_ge_i32_e32 vcc, v1, v4
	s_or_b64 s[2:3], vcc, s[2:3]
	s_andn2_b64 exec, exec, s[2:3]
	s_cbranch_execnz .LBB23_39
; %bb.40:
	s_or_b64 exec, exec, s[2:3]
.LBB23_41:
	s_or_b64 exec, exec, s[0:1]
	v_sub_u32_e32 v7, v2, v1
	v_or_b32_e32 v25, 0x4800, v24
	v_cmp_lt_i32_e32 vcc, v7, v19
	v_mov_b32_e32 v5, 0
	s_and_saveexec_b64 s[2:3], vcc
	s_cbranch_execz .LBB23_71
; %bb.42:
	v_lshl_add_u32 v5, v7, 2, v3
	ds_read_b32 v6, v5 offset:1024
	v_mov_b32_e32 v4, 0
	v_cmp_lt_i32_e32 vcc, 0, v1
	v_mov_b32_e32 v8, 0
	s_and_saveexec_b64 s[0:1], vcc
	s_cbranch_execnz .LBB23_47
; %bb.43:
	s_or_b64 exec, exec, s[0:1]
	v_cmp_lt_i32_e32 vcc, v4, v8
	s_and_saveexec_b64 s[0:1], vcc
	s_cbranch_execnz .LBB23_48
.LBB23_44:
	s_or_b64 exec, exec, s[0:1]
	v_cmp_lt_i32_e32 vcc, v4, v8
	s_and_saveexec_b64 s[0:1], vcc
	s_cbranch_execnz .LBB23_49
.LBB23_45:
	s_or_b64 exec, exec, s[0:1]
	v_cmp_lt_i32_e32 vcc, v4, v8
	s_and_saveexec_b64 s[0:1], vcc
	s_cbranch_execnz .LBB23_50
.LBB23_46:
	s_or_b64 exec, exec, s[0:1]
	v_cmp_lt_i32_e32 vcc, v4, v8
	s_and_saveexec_b64 s[0:1], vcc
	s_cbranch_execnz .LBB23_51
	s_branch .LBB23_54
.LBB23_47:
	s_movk_i32 s4, 0x1ff
	v_mul_lo_u32 v4, v1, s4
	v_ashrrev_i32_e32 v8, 9, v4
	v_lshlrev_b32_e32 v4, 2, v8
	ds_read_b32 v4, v4 offset:19456
	v_add_u32_e32 v9, 1, v8
	s_waitcnt lgkmcnt(0)
	v_cmp_lt_i32_e32 vcc, v4, v6
	v_cndmask_b32_e32 v4, 0, v9, vcc
	v_cndmask_b32_e32 v8, v8, v1, vcc
	s_or_b64 exec, exec, s[0:1]
	v_cmp_lt_i32_e32 vcc, v4, v8
	s_and_saveexec_b64 s[0:1], vcc
	s_cbranch_execz .LBB23_44
.LBB23_48:
	v_sub_u32_e32 v9, v4, v8
	v_lshl_add_u32 v9, v8, 7, v9
	v_ashrrev_i32_e32 v9, 7, v9
	v_lshlrev_b32_e32 v10, 2, v9
	ds_read_b32 v10, v10 offset:19456
	v_add_u32_e32 v11, 1, v9
	s_waitcnt lgkmcnt(0)
	v_cmp_lt_i32_e32 vcc, v10, v6
	v_cndmask_b32_e32 v4, v4, v11, vcc
	v_cndmask_b32_e32 v8, v9, v8, vcc
	s_or_b64 exec, exec, s[0:1]
	v_cmp_lt_i32_e32 vcc, v4, v8
	s_and_saveexec_b64 s[0:1], vcc
	s_cbranch_execz .LBB23_45
.LBB23_49:
	v_sub_u32_e32 v9, v4, v8
	v_lshl_add_u32 v9, v8, 5, v9
	v_ashrrev_i32_e32 v9, 5, v9
	v_lshlrev_b32_e32 v10, 2, v9
	ds_read_b32 v10, v10 offset:19456
	v_add_u32_e32 v11, 1, v9
	s_waitcnt lgkmcnt(0)
	v_cmp_lt_i32_e32 vcc, v10, v6
	v_cndmask_b32_e32 v4, v4, v11, vcc
	v_cndmask_b32_e32 v8, v9, v8, vcc
	s_or_b64 exec, exec, s[0:1]
	v_cmp_lt_i32_e32 vcc, v4, v8
	s_and_saveexec_b64 s[0:1], vcc
	s_cbranch_execz .LBB23_46
.LBB23_50:
	v_sub_u32_e32 v9, v4, v8
	v_lshl_add_u32 v9, v8, 4, v9
	v_ashrrev_i32_e32 v9, 4, v9
	v_lshlrev_b32_e32 v10, 2, v9
	ds_read_b32 v10, v10 offset:19456
	v_add_u32_e32 v11, 1, v9
	s_waitcnt lgkmcnt(0)
	v_cmp_lt_i32_e32 vcc, v10, v6
	v_cndmask_b32_e32 v4, v4, v11, vcc
	v_cndmask_b32_e32 v8, v9, v8, vcc
	s_or_b64 exec, exec, s[0:1]
	v_cmp_lt_i32_e32 vcc, v4, v8
	s_and_saveexec_b64 s[0:1], vcc
	s_cbranch_execz .LBB23_54
.LBB23_51:
	s_mov_b64 s[4:5], 0
.LBB23_52:                              ; =>This Inner Loop Header: Depth=1
	v_sub_u32_e32 v9, v4, v8
	v_lshl_add_u32 v9, v8, 1, v9
	v_ashrrev_i32_e32 v9, 1, v9
	v_lshlrev_b32_e32 v10, 2, v9
	ds_read_b32 v10, v10 offset:19456
	v_add_u32_e32 v11, 1, v9
	s_waitcnt lgkmcnt(0)
	v_cmp_lt_i32_e32 vcc, v10, v6
	v_cndmask_b32_e32 v4, v4, v11, vcc
	v_cndmask_b32_e32 v8, v9, v8, vcc
	v_cmp_ge_i32_e32 vcc, v4, v8
	s_or_b64 s[4:5], vcc, s[4:5]
	s_andn2_b64 exec, exec, s[4:5]
	s_cbranch_execnz .LBB23_52
; %bb.53:
	s_or_b64 exec, exec, s[4:5]
.LBB23_54:
	s_or_b64 exec, exec, s[0:1]
	v_mov_b32_e32 v8, 0
	v_cmp_lt_i32_e32 vcc, 0, v7
	v_mov_b32_e32 v9, v7
	s_and_saveexec_b64 s[0:1], vcc
	s_cbranch_execnz .LBB23_59
; %bb.55:
	s_or_b64 exec, exec, s[0:1]
	v_cmp_lt_i32_e32 vcc, v8, v9
	s_and_saveexec_b64 s[0:1], vcc
	s_cbranch_execnz .LBB23_60
.LBB23_56:
	s_or_b64 exec, exec, s[0:1]
	v_cmp_lt_i32_e32 vcc, v8, v9
	s_and_saveexec_b64 s[0:1], vcc
	s_cbranch_execnz .LBB23_61
.LBB23_57:
	s_or_b64 exec, exec, s[0:1]
	v_cmp_lt_i32_e32 vcc, v8, v9
	s_and_saveexec_b64 s[0:1], vcc
	s_cbranch_execnz .LBB23_62
.LBB23_58:
	s_or_b64 exec, exec, s[0:1]
	v_cmp_lt_i32_e32 vcc, v8, v9
	s_and_saveexec_b64 s[0:1], vcc
	s_cbranch_execnz .LBB23_63
	s_branch .LBB23_66
.LBB23_59:
	s_movk_i32 s4, 0x1ff
	v_mul_lo_u32 v8, v7, s4
	v_lshrrev_b32_e32 v9, 9, v8
	v_lshl_add_u32 v8, v9, 2, v3
	ds_read_b32 v8, v8 offset:1024
	v_add_u32_e32 v10, 1, v9
	s_waitcnt lgkmcnt(0)
	v_cmp_lt_i32_e32 vcc, v8, v6
	v_cndmask_b32_e32 v8, 0, v10, vcc
	v_cndmask_b32_e32 v9, v9, v7, vcc
	s_or_b64 exec, exec, s[0:1]
	v_cmp_lt_i32_e32 vcc, v8, v9
	s_and_saveexec_b64 s[0:1], vcc
	s_cbranch_execz .LBB23_56
.LBB23_60:
	v_sub_u32_e32 v10, v8, v9
	v_lshl_add_u32 v10, v9, 7, v10
	v_ashrrev_i32_e32 v10, 7, v10
	v_lshl_add_u32 v11, v10, 2, v3
	ds_read_b32 v11, v11 offset:1024
	v_add_u32_e32 v12, 1, v10
	s_waitcnt lgkmcnt(0)
	v_cmp_lt_i32_e32 vcc, v11, v6
	v_cndmask_b32_e32 v8, v8, v12, vcc
	v_cndmask_b32_e32 v9, v10, v9, vcc
	s_or_b64 exec, exec, s[0:1]
	v_cmp_lt_i32_e32 vcc, v8, v9
	s_and_saveexec_b64 s[0:1], vcc
	s_cbranch_execz .LBB23_57
.LBB23_61:
	v_sub_u32_e32 v10, v8, v9
	v_lshl_add_u32 v10, v9, 5, v10
	v_ashrrev_i32_e32 v10, 5, v10
	v_lshl_add_u32 v11, v10, 2, v3
	ds_read_b32 v11, v11 offset:1024
	v_add_u32_e32 v12, 1, v10
	s_waitcnt lgkmcnt(0)
	v_cmp_lt_i32_e32 vcc, v11, v6
	v_cndmask_b32_e32 v8, v8, v12, vcc
	v_cndmask_b32_e32 v9, v10, v9, vcc
	s_or_b64 exec, exec, s[0:1]
	v_cmp_lt_i32_e32 vcc, v8, v9
	s_and_saveexec_b64 s[0:1], vcc
	s_cbranch_execz .LBB23_58
.LBB23_62:
	v_sub_u32_e32 v10, v8, v9
	v_lshl_add_u32 v10, v9, 4, v10
	v_ashrrev_i32_e32 v10, 4, v10
	v_lshl_add_u32 v11, v10, 2, v3
	ds_read_b32 v11, v11 offset:1024
	v_add_u32_e32 v12, 1, v10
	s_waitcnt lgkmcnt(0)
	v_cmp_lt_i32_e32 vcc, v11, v6
	v_cndmask_b32_e32 v8, v8, v12, vcc
	v_cndmask_b32_e32 v9, v10, v9, vcc
	s_or_b64 exec, exec, s[0:1]
	v_cmp_lt_i32_e32 vcc, v8, v9
	s_and_saveexec_b64 s[0:1], vcc
	s_cbranch_execz .LBB23_66
.LBB23_63:
	s_mov_b64 s[4:5], 0
.LBB23_64:                              ; =>This Inner Loop Header: Depth=1
	v_sub_u32_e32 v10, v8, v9
	v_lshl_add_u32 v10, v9, 1, v10
	v_ashrrev_i32_e32 v10, 1, v10
	v_lshl_add_u32 v11, v10, 2, v3
	ds_read_b32 v11, v11 offset:1024
	v_add_u32_e32 v12, 1, v10
	s_waitcnt lgkmcnt(0)
	v_cmp_lt_i32_e32 vcc, v11, v6
	v_cndmask_b32_e32 v8, v8, v12, vcc
	v_cndmask_b32_e32 v9, v10, v9, vcc
	v_cmp_ge_i32_e32 vcc, v8, v9
	s_or_b64 s[4:5], vcc, s[4:5]
	s_andn2_b64 exec, exec, s[4:5]
	s_cbranch_execnz .LBB23_64
; %bb.65:
	s_or_b64 exec, exec, s[4:5]
.LBB23_66:
	s_or_b64 exec, exec, s[0:1]
	v_sub_u32_e32 v1, v1, v4
	v_sub_u32_e32 v9, v7, v8
	v_add_u32_e32 v3, v9, v1
	v_ashrrev_i32_e32 v1, 1, v3
	v_max_i32_e32 v1, v1, v9
	v_add3_u32 v8, v8, v1, 1
	v_min_i32_e32 v8, v8, v19
	v_sub_u32_e32 v8, v8, v7
	v_mov_b32_e32 v7, 0
	v_cmp_lt_i32_e32 vcc, 0, v8
	s_and_saveexec_b64 s[0:1], vcc
	s_cbranch_execz .LBB23_70
; %bb.67:
	v_mov_b32_e32 v7, 0
	s_mov_b64 s[4:5], 0
.LBB23_68:                              ; =>This Inner Loop Header: Depth=1
	v_add_u32_e32 v10, v7, v8
	v_lshrrev_b32_e32 v10, 1, v10
	v_lshl_add_u32 v11, v10, 2, v5
	ds_read_b32 v11, v11 offset:1024
	v_add_u32_e32 v12, 1, v10
	s_waitcnt lgkmcnt(0)
	v_cmp_lt_i32_e32 vcc, v6, v11
	v_cndmask_b32_e32 v7, v12, v7, vcc
	v_cndmask_b32_e32 v8, v8, v10, vcc
	v_cmp_ge_i32_e32 vcc, v7, v8
	s_or_b64 s[4:5], vcc, s[4:5]
	s_andn2_b64 exec, exec, s[4:5]
	s_cbranch_execnz .LBB23_68
; %bb.69:
	s_or_b64 exec, exec, s[4:5]
.LBB23_70:
	s_or_b64 exec, exec, s[0:1]
	v_add_u32_e32 v5, v7, v9
	s_waitcnt lgkmcnt(0)
	v_min_i32_e32 v6, v5, v1
	v_sub_u32_e32 v3, v3, v6
	v_add_u32_e32 v6, 1, v6
	v_cmp_eq_u32_e32 vcc, v3, v6
	v_cmp_lt_i32_e64 s[0:1], v1, v5
	s_and_b64 s[0:1], s[0:1], vcc
	v_cndmask_b32_e64 v5, 0, 1, s[0:1]
	v_add_u32_e32 v1, v3, v4
.LBB23_71:
	s_or_b64 exec, exec, s[2:3]
	v_add_u32_e32 v2, v5, v2
	v_sub_u32_e32 v2, v2, v1
	v_lshlrev_b32_e32 v3, 16, v18
	v_or_b32_e32 v3, v3, v19
	v_lshl_or_b32 v4, v1, 16, v2
	v_subrev_co_u32_e64 v5, s[0:1], 1, v0
	v_cndmask_b32_e64 v3, v4, v3, s[0:1]
	v_mov_b32_e32 v4, 0xff
	v_cndmask_b32_e64 v4, v5, v4, s[0:1]
	v_lshlrev_b32_e32 v4, 2, v4
	ds_write_b32 v4, v3 offset:18432
	v_add_u32_e32 v4, v2, v18
	v_lshlrev_b32_e32 v7, 2, v1
	s_waitcnt lgkmcnt(0)
	s_barrier
	v_lshlrev_b32_e32 v8, 2, v4
	ds_read_b32 v27, v7 offset:19456
	ds_read_b32 v5, v8 offset:19456
	ds_read_b32 v3, v25
	v_mov_b32_e32 v6, v1
	s_waitcnt lgkmcnt(2)
	v_mov_b32_e32 v26, v27
	s_waitcnt lgkmcnt(1)
	v_cmp_ge_i32_e32 vcc, v5, v27
	s_and_saveexec_b64 s[2:3], vcc
; %bb.72:
	v_add_u32_e32 v6, 0x4800, v7
	ds_read_b32 v26, v6 offset:1028
	v_add_u32_e32 v6, 1, v1
; %bb.73:
	s_or_b64 exec, exec, s[2:3]
	v_cmp_ge_i32_e32 vcc, v27, v5
	v_mov_b32_e32 v7, v5
	s_and_saveexec_b64 s[2:3], vcc
; %bb.74:
	v_add_u32_e32 v7, 0x4800, v8
	ds_read_b32 v7, v7 offset:1028
	v_add_u32_e32 v4, 1, v4
; %bb.75:
	s_or_b64 exec, exec, s[2:3]
	s_waitcnt lgkmcnt(0)
	v_cmp_ge_i32_e32 vcc, v7, v26
	v_mov_b32_e32 v28, v26
	v_mov_b32_e32 v8, v6
	s_and_saveexec_b64 s[2:3], vcc
; %bb.76:
	v_lshlrev_b32_e32 v8, 2, v6
	ds_read_b32 v28, v8 offset:19460
	v_add_u32_e32 v8, 1, v6
; %bb.77:
	s_or_b64 exec, exec, s[2:3]
	v_cmp_ge_i32_e32 vcc, v26, v7
	v_mov_b32_e32 v9, v7
	v_mov_b32_e32 v10, v4
	s_and_saveexec_b64 s[2:3], vcc
; %bb.78:
	v_lshlrev_b32_e32 v9, 2, v4
	ds_read_b32 v9, v9 offset:19460
	v_add_u32_e32 v10, 1, v4
; %bb.79:
	s_or_b64 exec, exec, s[2:3]
	s_waitcnt lgkmcnt(0)
	v_cmp_ge_i32_e32 vcc, v9, v28
	v_mov_b32_e32 v29, v28
	v_mov_b32_e32 v11, v8
	s_and_saveexec_b64 s[2:3], vcc
; %bb.80:
	v_lshlrev_b32_e32 v11, 2, v8
	ds_read_b32 v29, v11 offset:19460
	v_add_u32_e32 v11, 1, v8
; %bb.81:
	s_or_b64 exec, exec, s[2:3]
	v_cmp_ge_i32_e32 vcc, v28, v9
	v_mov_b32_e32 v12, v9
	v_mov_b32_e32 v13, v10
	s_and_saveexec_b64 s[2:3], vcc
; %bb.82:
	v_lshlrev_b32_e32 v12, 2, v10
	;; [unrolled: 21-line block ×14, first 2 shown]
	ds_read_b32 v73, v72 offset:19460
	v_add_u32_e32 v72, 1, v70
; %bb.131:
	s_or_b64 exec, exec, s[2:3]
	v_cmp_ge_i32_sdwa s[4:5], v71, sext(v3) src0_sel:DWORD src1_sel:WORD_1
	v_add_u32_sdwa v71, v3, v18 dst_sel:DWORD dst_unused:UNUSED_PAD src0_sel:WORD_0 src1_sel:DWORD
	v_cmp_ge_i32_e64 s[2:3], v72, v71
	s_waitcnt lgkmcnt(0)
	v_cmp_ne_u32_e32 vcc, v73, v41
	s_or_b64 s[2:3], s[4:5], s[2:3]
	v_mov_b32_e32 v72, 0x8000
	s_or_b64 s[2:3], vcc, s[2:3]
	v_cndmask_b32_e64 v72, v72, 0, s[2:3]
	v_cmp_ge_i32_sdwa s[4:5], v68, sext(v3) src0_sel:DWORD src1_sel:WORD_1
	v_cmp_ge_i32_e64 s[2:3], v70, v71
	v_cmp_ne_u32_e32 vcc, v69, v40
	s_or_b64 s[2:3], s[4:5], s[2:3]
	v_mov_b32_e32 v68, 0x4000
	s_or_b64 s[2:3], vcc, s[2:3]
	v_cndmask_b32_e64 v68, v68, 0, s[2:3]
	v_cmp_ge_i32_sdwa s[4:5], v65, sext(v3) src0_sel:DWORD src1_sel:WORD_1
	v_cmp_ge_i32_e64 s[2:3], v67, v71
	v_cmp_ne_u32_e32 vcc, v66, v39
	s_or_b64 s[2:3], s[4:5], s[2:3]
	v_mov_b32_e32 v65, 0x2000
	s_or_b64 s[2:3], vcc, s[2:3]
	v_cndmask_b32_e64 v65, v65, 0, s[2:3]
	v_cmp_ge_i32_sdwa s[4:5], v62, sext(v3) src0_sel:DWORD src1_sel:WORD_1
	v_cmp_ge_i32_e64 s[2:3], v64, v71
	v_cmp_ne_u32_e32 vcc, v63, v38
	s_or_b64 s[2:3], s[4:5], s[2:3]
	v_mov_b32_e32 v62, 0x1000
	s_or_b64 s[2:3], vcc, s[2:3]
	v_cndmask_b32_e64 v62, v62, 0, s[2:3]
	v_cmp_ge_i32_sdwa s[4:5], v59, sext(v3) src0_sel:DWORD src1_sel:WORD_1
	v_cmp_ge_i32_e64 s[2:3], v61, v71
	v_cmp_ne_u32_e32 vcc, v60, v37
	s_or_b64 s[2:3], s[4:5], s[2:3]
	v_mov_b32_e32 v59, 0x800
	s_or_b64 s[2:3], vcc, s[2:3]
	v_cndmask_b32_e64 v59, v59, 0, s[2:3]
	v_cmp_ge_i32_sdwa s[4:5], v56, sext(v3) src0_sel:DWORD src1_sel:WORD_1
	v_cmp_ge_i32_e64 s[2:3], v58, v71
	v_cmp_ne_u32_e32 vcc, v57, v36
	s_or_b64 s[2:3], s[4:5], s[2:3]
	v_mov_b32_e32 v56, 0x400
	s_or_b64 s[2:3], vcc, s[2:3]
	v_cndmask_b32_e64 v56, v56, 0, s[2:3]
	v_cmp_ge_i32_sdwa s[4:5], v53, sext(v3) src0_sel:DWORD src1_sel:WORD_1
	v_cmp_ge_i32_e64 s[2:3], v55, v71
	v_cmp_ne_u32_e32 vcc, v54, v35
	s_or_b64 s[2:3], s[4:5], s[2:3]
	v_mov_b32_e32 v53, 0x200
	s_or_b64 s[2:3], vcc, s[2:3]
	v_cndmask_b32_e64 v53, v53, 0, s[2:3]
	v_cmp_ge_i32_sdwa s[4:5], v50, sext(v3) src0_sel:DWORD src1_sel:WORD_1
	v_cmp_ge_i32_e64 s[2:3], v52, v71
	v_cmp_ne_u32_e32 vcc, v51, v34
	s_or_b64 s[2:3], s[4:5], s[2:3]
	v_mov_b32_e32 v50, 0x100
	s_or_b64 s[2:3], vcc, s[2:3]
	v_cndmask_b32_e64 v50, v50, 0, s[2:3]
	v_cmp_ge_i32_sdwa s[4:5], v47, sext(v3) src0_sel:DWORD src1_sel:WORD_1
	v_cmp_ge_i32_e64 s[2:3], v49, v71
	v_cmp_ne_u32_e32 vcc, v48, v33
	s_or_b64 s[2:3], s[4:5], s[2:3]
	v_mov_b32_e32 v47, 0x80
	s_or_b64 s[2:3], vcc, s[2:3]
	v_cndmask_b32_e64 v48, v47, 0, s[2:3]
	v_cmp_ge_i32_sdwa s[4:5], v44, sext(v3) src0_sel:DWORD src1_sel:WORD_1
	v_cmp_ge_i32_e64 s[2:3], v46, v71
	v_cmp_ne_u32_e32 vcc, v45, v32
	s_or_b64 s[2:3], s[4:5], s[2:3]
	s_or_b64 s[2:3], vcc, s[2:3]
	v_cndmask_b32_e64 v44, 64, 0, s[2:3]
	v_cmp_ge_i32_sdwa s[4:5], v17, sext(v3) src0_sel:DWORD src1_sel:WORD_1
	v_cmp_ge_i32_e64 s[2:3], v43, v71
	v_cmp_ne_u32_e32 vcc, v42, v31
	s_or_b64 s[2:3], s[4:5], s[2:3]
	s_or_b64 s[8:9], vcc, s[2:3]
	v_cmp_ge_i32_sdwa s[16:17], v14, sext(v3) src0_sel:DWORD src1_sel:WORD_1
	v_cmp_ge_i32_e64 s[2:3], v16, v71
	v_cmp_ne_u32_e32 vcc, v15, v30
	s_or_b64 s[2:3], s[16:17], s[2:3]
	s_or_b64 s[16:17], vcc, s[2:3]
	;; [unrolled: 5-line block ×5, first 2 shown]
	v_cmp_gt_i32_sdwa s[2:3], sext(v3), v1 src0_sel:WORD_1 src1_sel:DWORD
	v_cmp_gt_i32_sdwa s[22:23], v3, v2 src0_sel:WORD_0 src1_sel:DWORD
	v_cmp_eq_u32_e32 vcc, v5, v27
	s_and_b64 s[2:3], s[2:3], s[22:23]
	s_and_b64 s[22:23], s[2:3], vcc
	v_cndmask_b32_e64 v8, 4, 0, s[20:21]
	v_cndmask_b32_e64 v4, 2, 0, s[24:25]
	;; [unrolled: 1-line block ×5, first 2 shown]
	v_or3_b32 v1, v4, v1, v8
	v_cndmask_b32_e64 v17, 32, 0, s[8:9]
	v_or3_b32 v1, v1, v11, v14
	v_or3_b32 v47, v1, v17, v44
	v_or_b32_e32 v46, v48, v47
	v_or3_b32 v45, v50, v53, v46
	v_or3_b32 v44, v56, v59, v45
	;; [unrolled: 1-line block ×4, first 2 shown]
	s_mov_b64 s[4:5], -1
	v_bcnt_u32_b32 v9, v42, 0
	s_cmp_lg_u32 s14, 0
	v_mov_b32_e32 v10, 0
	s_barrier
	s_cbranch_scc0 .LBB23_185
; %bb.132:
	v_mbcnt_lo_u32_b32 v1, -1, 0
	v_mbcnt_hi_u32_b32 v16, -1, v1
	v_and_b32_e32 v6, 15, v16
	v_mov_b32_e32 v3, v9
	v_mov_b32_dpp v1, v9 row_shr:1 row_mask:0xf bank_mask:0xf
	v_mov_b32_dpp v7, v10 row_shr:1 row_mask:0xf bank_mask:0xf
	v_cmp_ne_u32_e32 vcc, 0, v6
	v_mov_b32_e32 v5, v9
	v_mov_b32_e32 v2, v10
	;; [unrolled: 1-line block ×3, first 2 shown]
	s_and_saveexec_b64 s[2:3], vcc
; %bb.133:
	v_add_co_u32_e32 v5, vcc, v1, v9
	v_addc_co_u32_e64 v2, s[4:5], 0, 0, vcc
	v_add_co_u32_e32 v1, vcc, 0, v5
	v_addc_co_u32_e32 v2, vcc, v7, v2, vcc
	v_mov_b32_e32 v4, v2
	v_mov_b32_e32 v3, v1
; %bb.134:
	s_or_b64 exec, exec, s[2:3]
	v_mov_b32_dpp v1, v5 row_shr:2 row_mask:0xf bank_mask:0xf
	v_mov_b32_dpp v7, v2 row_shr:2 row_mask:0xf bank_mask:0xf
	v_cmp_lt_u32_e32 vcc, 1, v6
	s_and_saveexec_b64 s[2:3], vcc
; %bb.135:
	v_add_co_u32_e32 v5, vcc, v3, v1
	v_addc_co_u32_e32 v2, vcc, 0, v4, vcc
	v_add_co_u32_e32 v1, vcc, 0, v5
	v_addc_co_u32_e32 v2, vcc, v7, v2, vcc
	v_mov_b32_e32 v4, v2
	v_mov_b32_e32 v3, v1
; %bb.136:
	s_or_b64 exec, exec, s[2:3]
	v_mov_b32_dpp v1, v5 row_shr:4 row_mask:0xf bank_mask:0xf
	v_mov_b32_dpp v7, v2 row_shr:4 row_mask:0xf bank_mask:0xf
	v_cmp_lt_u32_e32 vcc, 3, v6
	s_and_saveexec_b64 s[2:3], vcc
; %bb.137:
	v_add_co_u32_e32 v5, vcc, v3, v1
	v_addc_co_u32_e32 v2, vcc, 0, v4, vcc
	;; [unrolled: 13-line block ×3, first 2 shown]
	v_add_co_u32_e32 v1, vcc, 0, v5
	v_addc_co_u32_e32 v2, vcc, v7, v2, vcc
	v_mov_b32_e32 v4, v2
	v_mov_b32_e32 v3, v1
; %bb.140:
	s_or_b64 exec, exec, s[2:3]
	v_and_b32_e32 v7, 16, v16
	v_mov_b32_dpp v1, v5 row_bcast:15 row_mask:0xf bank_mask:0xf
	v_mov_b32_dpp v6, v2 row_bcast:15 row_mask:0xf bank_mask:0xf
	v_cmp_ne_u32_e32 vcc, 0, v7
	s_and_saveexec_b64 s[2:3], vcc
; %bb.141:
	v_add_co_u32_e32 v5, vcc, v3, v1
	v_addc_co_u32_e32 v2, vcc, 0, v4, vcc
	v_add_co_u32_e32 v1, vcc, 0, v5
	v_addc_co_u32_e32 v2, vcc, v6, v2, vcc
	v_mov_b32_e32 v4, v2
	v_mov_b32_e32 v3, v1
; %bb.142:
	s_or_b64 exec, exec, s[2:3]
	v_mov_b32_dpp v7, v5 row_bcast:31 row_mask:0xf bank_mask:0xf
	v_add_co_u32_e64 v7, s[2:3], v3, v7
	v_lshrrev_b32_e32 v6, 6, v0
	v_mov_b32_dpp v1, v2 row_bcast:31 row_mask:0xf bank_mask:0xf
	v_addc_co_u32_e64 v2, s[2:3], 0, v4, s[2:3]
	v_or_b32_e32 v8, 63, v0
	v_cmp_lt_u32_e32 vcc, 31, v16
	v_cmp_eq_u32_e64 s[2:3], v0, v8
	v_lshlrev_b32_e32 v6, 3, v6
	s_and_saveexec_b64 s[4:5], s[2:3]
; %bb.143:
	v_add_co_u32_e64 v8, s[2:3], 0, v7
	v_addc_co_u32_e64 v1, s[2:3], v1, v2, s[2:3]
	v_cndmask_b32_e32 v2, v4, v1, vcc
	v_cndmask_b32_e32 v1, v3, v8, vcc
	ds_write_b64 v6, v[1:2] offset:18432
; %bb.144:
	s_or_b64 exec, exec, s[4:5]
	v_cmp_gt_u32_e64 s[2:3], 4, v0
	s_waitcnt lgkmcnt(0)
	s_barrier
	s_and_saveexec_b64 s[4:5], s[2:3]
	s_cbranch_execz .LBB23_148
; %bb.145:
	v_lshlrev_b32_e32 v3, 3, v0
	ds_read_b64 v[1:2], v3 offset:18432
	v_and_b32_e32 v4, 3, v16
	v_or_b32_e32 v3, 0x4800, v3
	v_cmp_ne_u32_e64 s[2:3], 0, v4
	s_waitcnt lgkmcnt(0)
	v_mov_b32_dpp v12, v1 row_shr:1 row_mask:0xf bank_mask:0xf
	v_mov_b32_dpp v11, v2 row_shr:1 row_mask:0xf bank_mask:0xf
	v_mov_b32_e32 v8, v1
	s_and_saveexec_b64 s[26:27], s[2:3]
; %bb.146:
	v_add_co_u32_e64 v8, s[2:3], v1, v12
	v_addc_co_u32_e64 v2, s[2:3], 0, v2, s[2:3]
	v_add_co_u32_e64 v1, s[2:3], 0, v8
	v_addc_co_u32_e64 v2, s[2:3], v11, v2, s[2:3]
; %bb.147:
	s_or_b64 exec, exec, s[26:27]
	v_mov_b32_dpp v8, v8 row_shr:2 row_mask:0xf bank_mask:0xf
	v_add_co_u32_e64 v8, s[2:3], v1, v8
	v_addc_co_u32_e64 v12, s[2:3], 0, v2, s[2:3]
	v_mov_b32_dpp v11, v2 row_shr:2 row_mask:0xf bank_mask:0xf
	v_add_co_u32_e64 v8, s[2:3], 0, v8
	v_addc_co_u32_e64 v11, s[2:3], v12, v11, s[2:3]
	v_cmp_lt_u32_e64 s[2:3], 1, v4
	v_cndmask_b32_e64 v2, v2, v11, s[2:3]
	v_cndmask_b32_e64 v1, v1, v8, s[2:3]
	ds_write_b64 v3, v[1:2]
.LBB23_148:
	s_or_b64 exec, exec, s[4:5]
	v_cndmask_b32_e32 v1, v5, v7, vcc
	v_cmp_gt_u32_e32 vcc, 64, v0
	v_cmp_lt_u32_e64 s[2:3], 63, v0
	s_waitcnt lgkmcnt(0)
	s_barrier
                                        ; implicit-def: $vgpr11_vgpr12
	s_and_saveexec_b64 s[4:5], s[2:3]
	s_cbranch_execz .LBB23_150
; %bb.149:
	ds_read_b64 v[11:12], v6 offset:18424
	s_waitcnt lgkmcnt(0)
	v_add_u32_e32 v1, v1, v11
.LBB23_150:
	s_or_b64 exec, exec, s[4:5]
	v_subrev_co_u32_e64 v2, s[2:3], 1, v16
	v_and_b32_e32 v3, 64, v16
	v_cmp_lt_i32_e64 s[4:5], v2, v3
	v_cndmask_b32_e64 v2, v2, v16, s[4:5]
	v_lshlrev_b32_e32 v2, 2, v2
	ds_bpermute_b32 v48, v2, v1
	s_and_saveexec_b64 s[4:5], vcc
	s_cbranch_execz .LBB23_190
; %bb.151:
	v_mov_b32_e32 v4, 0
	ds_read_b64 v[1:2], v4 offset:18456
	s_and_saveexec_b64 s[26:27], s[2:3]
	s_cbranch_execz .LBB23_153
; %bb.152:
	s_add_i32 s28, s14, 64
	s_mov_b32 s29, 0
	s_lshl_b64 s[28:29], s[28:29], 4
	s_add_u32 s28, s12, s28
	s_addc_u32 s29, s13, s29
	v_mov_b32_e32 v5, s28
	v_mov_b32_e32 v3, 1
	;; [unrolled: 1-line block ×3, first 2 shown]
	s_waitcnt lgkmcnt(0)
	;;#ASMSTART
	global_store_dwordx4 v[5:6], v[1:4] off	
s_waitcnt vmcnt(0)
	;;#ASMEND
.LBB23_153:
	s_or_b64 exec, exec, s[26:27]
	v_xad_u32 v12, v16, -1, s14
	v_add_u32_e32 v3, 64, v12
	v_lshlrev_b64 v[5:6], 4, v[3:4]
	v_mov_b32_e32 v3, s13
	v_add_co_u32_e32 v13, vcc, s12, v5
	v_addc_co_u32_e32 v14, vcc, v3, v6, vcc
	;;#ASMSTART
	global_load_dwordx4 v[5:8], v[13:14] off glc	
s_waitcnt vmcnt(0)
	;;#ASMEND
	v_cmp_eq_u16_sdwa s[28:29], v7, v4 src0_sel:BYTE_0 src1_sel:DWORD
	s_and_saveexec_b64 s[26:27], s[28:29]
	s_cbranch_execz .LBB23_157
; %bb.154:
	s_mov_b64 s[28:29], 0
	v_mov_b32_e32 v3, 0
.LBB23_155:                             ; =>This Inner Loop Header: Depth=1
	;;#ASMSTART
	global_load_dwordx4 v[5:8], v[13:14] off glc	
s_waitcnt vmcnt(0)
	;;#ASMEND
	v_cmp_ne_u16_sdwa s[30:31], v7, v3 src0_sel:BYTE_0 src1_sel:DWORD
	s_or_b64 s[28:29], s[30:31], s[28:29]
	s_andn2_b64 exec, exec, s[28:29]
	s_cbranch_execnz .LBB23_155
; %bb.156:
	s_or_b64 exec, exec, s[28:29]
.LBB23_157:
	s_or_b64 exec, exec, s[26:27]
	v_and_b32_e32 v49, 63, v16
	v_mov_b32_e32 v3, 2
	v_lshlrev_b64 v[14:15], v16, -1
	v_cmp_ne_u32_e32 vcc, 63, v49
	v_cmp_eq_u16_sdwa s[26:27], v7, v3 src0_sel:BYTE_0 src1_sel:DWORD
	v_addc_co_u32_e32 v8, vcc, 0, v16, vcc
	v_and_b32_e32 v3, s27, v15
	v_lshlrev_b32_e32 v50, 2, v8
	v_or_b32_e32 v3, 0x80000000, v3
	ds_bpermute_b32 v13, v50, v5
	ds_bpermute_b32 v8, v50, v6
	v_and_b32_e32 v4, s26, v14
	v_ffbl_b32_e32 v3, v3
	v_add_u32_e32 v3, 32, v3
	v_ffbl_b32_e32 v4, v4
	v_min_u32_e32 v3, v4, v3
	v_cmp_lt_u32_e32 vcc, v49, v3
	v_mov_b32_e32 v4, v5
	s_and_saveexec_b64 s[26:27], vcc
	s_cbranch_execz .LBB23_159
; %bb.158:
	s_waitcnt lgkmcnt(1)
	v_add_co_u32_e32 v4, vcc, v5, v13
	v_addc_co_u32_e32 v6, vcc, 0, v6, vcc
	v_add_co_u32_e32 v5, vcc, 0, v4
	s_waitcnt lgkmcnt(0)
	v_addc_co_u32_e32 v6, vcc, v8, v6, vcc
.LBB23_159:
	s_or_b64 exec, exec, s[26:27]
	v_cmp_gt_u32_e32 vcc, 62, v49
	s_waitcnt lgkmcnt(0)
	v_cndmask_b32_e64 v8, 0, 2, vcc
	v_add_lshl_u32 v51, v8, v16, 2
	ds_bpermute_b32 v13, v51, v4
	ds_bpermute_b32 v8, v51, v6
	v_add_u32_e32 v52, 2, v49
	v_cmp_le_u32_e32 vcc, v52, v3
	s_and_saveexec_b64 s[26:27], vcc
	s_cbranch_execz .LBB23_161
; %bb.160:
	s_waitcnt lgkmcnt(1)
	v_add_co_u32_e32 v4, vcc, v5, v13
	v_addc_co_u32_e32 v6, vcc, 0, v6, vcc
	v_add_co_u32_e32 v5, vcc, 0, v4
	s_waitcnt lgkmcnt(0)
	v_addc_co_u32_e32 v6, vcc, v8, v6, vcc
.LBB23_161:
	s_or_b64 exec, exec, s[26:27]
	v_cmp_gt_u32_e32 vcc, 60, v49
	s_waitcnt lgkmcnt(0)
	v_cndmask_b32_e64 v8, 0, 4, vcc
	v_add_lshl_u32 v53, v8, v16, 2
	ds_bpermute_b32 v13, v53, v4
	ds_bpermute_b32 v8, v53, v6
	v_add_u32_e32 v54, 4, v49
	v_cmp_le_u32_e32 vcc, v54, v3
	;; [unrolled: 19-line block ×4, first 2 shown]
	s_and_saveexec_b64 s[26:27], vcc
	s_cbranch_execz .LBB23_167
; %bb.166:
	s_waitcnt lgkmcnt(1)
	v_add_co_u32_e32 v4, vcc, v5, v13
	v_addc_co_u32_e32 v6, vcc, 0, v6, vcc
	v_add_co_u32_e32 v5, vcc, 0, v4
	s_waitcnt lgkmcnt(0)
	v_addc_co_u32_e32 v6, vcc, v8, v6, vcc
.LBB23_167:
	s_or_b64 exec, exec, s[26:27]
	s_waitcnt lgkmcnt(0)
	v_mov_b32_e32 v8, 0x80
	v_lshl_or_b32 v59, v16, 2, v8
	ds_bpermute_b32 v4, v59, v4
	ds_bpermute_b32 v8, v59, v6
	v_add_u32_e32 v60, 32, v49
	v_mov_b32_e32 v13, 0
	v_mov_b32_e32 v61, 2
	s_waitcnt lgkmcnt(1)
	v_add_co_u32_e32 v4, vcc, v5, v4
	v_addc_co_u32_e32 v16, vcc, 0, v6, vcc
	v_add_co_u32_e32 v4, vcc, 0, v4
	s_waitcnt lgkmcnt(0)
	v_addc_co_u32_e32 v8, vcc, v16, v8, vcc
	v_cmp_gt_u32_e32 vcc, v60, v3
	v_cndmask_b32_e32 v6, v8, v6, vcc
	v_cndmask_b32_e32 v5, v4, v5, vcc
	s_branch .LBB23_170
.LBB23_168:                             ;   in Loop: Header=BB23_170 Depth=1
	s_or_b64 exec, exec, s[26:27]
	ds_bpermute_b32 v16, v59, v16
	s_waitcnt lgkmcnt(1)
	ds_bpermute_b32 v17, v59, v6
	v_subrev_u32_e32 v12, 64, v12
	s_mov_b64 s[26:27], 0
	s_waitcnt lgkmcnt(1)
	v_add_co_u32_e32 v16, vcc, v5, v16
	v_addc_co_u32_e32 v62, vcc, 0, v6, vcc
	v_add_co_u32_e32 v16, vcc, 0, v16
	s_waitcnt lgkmcnt(0)
	v_addc_co_u32_e32 v17, vcc, v62, v17, vcc
	v_cmp_gt_u32_e32 vcc, v60, v8
	v_cndmask_b32_e32 v5, v16, v5, vcc
	v_cndmask_b32_e32 v6, v17, v6, vcc
	v_add_co_u32_e32 v5, vcc, v5, v3
	v_addc_co_u32_e32 v6, vcc, v6, v4, vcc
.LBB23_169:                             ;   in Loop: Header=BB23_170 Depth=1
	s_and_b64 vcc, exec, s[26:27]
	s_cbranch_vccnz .LBB23_186
.LBB23_170:                             ; =>This Loop Header: Depth=1
                                        ;     Child Loop BB23_173 Depth 2
	v_mov_b32_e32 v3, v5
	v_cmp_ne_u16_sdwa s[26:27], v7, v61 src0_sel:BYTE_0 src1_sel:DWORD
	v_mov_b32_e32 v4, v6
	s_cmp_lg_u64 s[26:27], exec
	s_mov_b64 s[26:27], -1
                                        ; implicit-def: $vgpr5_vgpr6
                                        ; implicit-def: $vgpr7
	s_cbranch_scc1 .LBB23_169
; %bb.171:                              ;   in Loop: Header=BB23_170 Depth=1
	v_lshlrev_b64 v[5:6], 4, v[12:13]
	v_mov_b32_e32 v7, s13
	v_add_co_u32_e32 v16, vcc, s12, v5
	v_addc_co_u32_e32 v17, vcc, v7, v6, vcc
	;;#ASMSTART
	global_load_dwordx4 v[5:8], v[16:17] off glc	
s_waitcnt vmcnt(0)
	;;#ASMEND
	v_cmp_eq_u16_sdwa s[28:29], v7, v13 src0_sel:BYTE_0 src1_sel:DWORD
	s_and_saveexec_b64 s[26:27], s[28:29]
	s_cbranch_execz .LBB23_175
; %bb.172:                              ;   in Loop: Header=BB23_170 Depth=1
	s_mov_b64 s[28:29], 0
.LBB23_173:                             ;   Parent Loop BB23_170 Depth=1
                                        ; =>  This Inner Loop Header: Depth=2
	;;#ASMSTART
	global_load_dwordx4 v[5:8], v[16:17] off glc	
s_waitcnt vmcnt(0)
	;;#ASMEND
	v_cmp_ne_u16_sdwa s[30:31], v7, v13 src0_sel:BYTE_0 src1_sel:DWORD
	s_or_b64 s[28:29], s[30:31], s[28:29]
	s_andn2_b64 exec, exec, s[28:29]
	s_cbranch_execnz .LBB23_173
; %bb.174:                              ;   in Loop: Header=BB23_170 Depth=1
	s_or_b64 exec, exec, s[28:29]
.LBB23_175:                             ;   in Loop: Header=BB23_170 Depth=1
	s_or_b64 exec, exec, s[26:27]
	v_cmp_eq_u16_sdwa s[26:27], v7, v61 src0_sel:BYTE_0 src1_sel:DWORD
	v_and_b32_e32 v8, s27, v15
	v_or_b32_e32 v8, 0x80000000, v8
	ds_bpermute_b32 v62, v50, v5
	ds_bpermute_b32 v17, v50, v6
	v_and_b32_e32 v16, s26, v14
	v_ffbl_b32_e32 v8, v8
	v_add_u32_e32 v8, 32, v8
	v_ffbl_b32_e32 v16, v16
	v_min_u32_e32 v8, v16, v8
	v_cmp_lt_u32_e32 vcc, v49, v8
	v_mov_b32_e32 v16, v5
	s_and_saveexec_b64 s[26:27], vcc
	s_cbranch_execz .LBB23_177
; %bb.176:                              ;   in Loop: Header=BB23_170 Depth=1
	s_waitcnt lgkmcnt(1)
	v_add_co_u32_e32 v16, vcc, v5, v62
	v_addc_co_u32_e32 v6, vcc, 0, v6, vcc
	v_add_co_u32_e32 v5, vcc, 0, v16
	s_waitcnt lgkmcnt(0)
	v_addc_co_u32_e32 v6, vcc, v17, v6, vcc
.LBB23_177:                             ;   in Loop: Header=BB23_170 Depth=1
	s_or_b64 exec, exec, s[26:27]
	s_waitcnt lgkmcnt(1)
	ds_bpermute_b32 v62, v51, v16
	s_waitcnt lgkmcnt(1)
	ds_bpermute_b32 v17, v51, v6
	v_cmp_le_u32_e32 vcc, v52, v8
	s_and_saveexec_b64 s[26:27], vcc
	s_cbranch_execz .LBB23_179
; %bb.178:                              ;   in Loop: Header=BB23_170 Depth=1
	s_waitcnt lgkmcnt(1)
	v_add_co_u32_e32 v16, vcc, v5, v62
	v_addc_co_u32_e32 v6, vcc, 0, v6, vcc
	v_add_co_u32_e32 v5, vcc, 0, v16
	s_waitcnt lgkmcnt(0)
	v_addc_co_u32_e32 v6, vcc, v17, v6, vcc
.LBB23_179:                             ;   in Loop: Header=BB23_170 Depth=1
	s_or_b64 exec, exec, s[26:27]
	s_waitcnt lgkmcnt(1)
	ds_bpermute_b32 v62, v53, v16
	s_waitcnt lgkmcnt(1)
	ds_bpermute_b32 v17, v53, v6
	v_cmp_le_u32_e32 vcc, v54, v8
	;; [unrolled: 16-line block ×4, first 2 shown]
	s_and_saveexec_b64 s[26:27], vcc
	s_cbranch_execz .LBB23_168
; %bb.184:                              ;   in Loop: Header=BB23_170 Depth=1
	s_waitcnt lgkmcnt(1)
	v_add_co_u32_e32 v16, vcc, v5, v62
	v_addc_co_u32_e32 v6, vcc, 0, v6, vcc
	v_add_co_u32_e32 v5, vcc, 0, v16
	s_waitcnt lgkmcnt(0)
	v_addc_co_u32_e32 v6, vcc, v17, v6, vcc
	s_branch .LBB23_168
.LBB23_185:
                                        ; implicit-def: $vgpr1_vgpr2
                                        ; implicit-def: $vgpr5_vgpr6
	s_movk_i32 s15, 0x4820
	s_and_b64 vcc, exec, s[4:5]
	s_cbranch_vccnz .LBB23_191
	s_branch .LBB23_210
.LBB23_186:
	s_and_saveexec_b64 s[26:27], s[2:3]
	s_cbranch_execz .LBB23_188
; %bb.187:
	s_add_i32 s28, s14, 64
	s_mov_b32 s29, 0
	s_lshl_b64 s[28:29], s[28:29], 4
	s_add_u32 s28, s12, s28
	v_add_co_u32_e32 v5, vcc, v3, v1
	s_addc_u32 s29, s13, s29
	v_mov_b32_e32 v12, s28
	v_addc_co_u32_e32 v6, vcc, v4, v2, vcc
	v_mov_b32_e32 v7, 2
	v_mov_b32_e32 v8, 0
	;; [unrolled: 1-line block ×3, first 2 shown]
	;;#ASMSTART
	global_store_dwordx4 v[12:13], v[5:8] off	
s_waitcnt vmcnt(0)
	;;#ASMEND
	ds_write_b128 v8, v[1:4] offset:18464
.LBB23_188:
	s_or_b64 exec, exec, s[26:27]
	s_and_b64 exec, exec, s[0:1]
; %bb.189:
	v_mov_b32_e32 v1, 0
	ds_write_b64 v1, v[3:4] offset:18456
.LBB23_190:
	s_or_b64 exec, exec, s[4:5]
	v_mov_b32_e32 v1, 0
	s_waitcnt lgkmcnt(0)
	s_barrier
	ds_read_b64 v[3:4], v1 offset:18456
	s_waitcnt lgkmcnt(0)
	s_barrier
	ds_read_b64 v[1:2], v1 offset:18472
	v_cndmask_b32_e64 v5, v48, v11, s[2:3]
	v_cndmask_b32_e64 v4, v5, 0, s[0:1]
	v_add_co_u32_e32 v5, vcc, v3, v4
	s_movk_i32 s15, 0x4820
	s_branch .LBB23_210
.LBB23_191:
	s_waitcnt lgkmcnt(0)
	v_mbcnt_lo_u32_b32 v1, -1, 0
	v_mbcnt_hi_u32_b32 v5, -1, v1
	v_mov_b32_e32 v2, 0
	v_and_b32_e32 v6, 15, v5
	v_mov_b32_e32 v3, v9
	v_mov_b32_dpp v1, v9 row_shr:1 row_mask:0xf bank_mask:0xf
	v_mov_b32_dpp v7, v2 row_shr:1 row_mask:0xf bank_mask:0xf
	v_cmp_ne_u32_e32 vcc, 0, v6
	v_mov_b32_e32 v4, v10
	s_and_saveexec_b64 s[2:3], vcc
; %bb.192:
	v_add_co_u32_e32 v9, vcc, v1, v9
	v_addc_co_u32_e64 v2, s[4:5], 0, 0, vcc
	v_add_co_u32_e32 v1, vcc, 0, v9
	v_addc_co_u32_e32 v2, vcc, v7, v2, vcc
	v_mov_b32_e32 v4, v2
	v_mov_b32_e32 v3, v1
; %bb.193:
	s_or_b64 exec, exec, s[2:3]
	v_mov_b32_dpp v1, v9 row_shr:2 row_mask:0xf bank_mask:0xf
	v_mov_b32_dpp v7, v2 row_shr:2 row_mask:0xf bank_mask:0xf
	v_cmp_lt_u32_e32 vcc, 1, v6
	s_and_saveexec_b64 s[2:3], vcc
; %bb.194:
	v_add_co_u32_e32 v9, vcc, v3, v1
	v_addc_co_u32_e32 v2, vcc, 0, v4, vcc
	v_add_co_u32_e32 v1, vcc, 0, v9
	v_addc_co_u32_e32 v2, vcc, v7, v2, vcc
	v_mov_b32_e32 v4, v2
	v_mov_b32_e32 v3, v1
; %bb.195:
	s_or_b64 exec, exec, s[2:3]
	v_mov_b32_dpp v1, v9 row_shr:4 row_mask:0xf bank_mask:0xf
	v_mov_b32_dpp v7, v2 row_shr:4 row_mask:0xf bank_mask:0xf
	v_cmp_lt_u32_e32 vcc, 3, v6
	s_and_saveexec_b64 s[2:3], vcc
; %bb.196:
	v_add_co_u32_e32 v9, vcc, v3, v1
	v_addc_co_u32_e32 v2, vcc, 0, v4, vcc
	;; [unrolled: 13-line block ×3, first 2 shown]
	v_add_co_u32_e32 v1, vcc, 0, v9
	v_addc_co_u32_e32 v2, vcc, v7, v2, vcc
	v_mov_b32_e32 v4, v2
	v_mov_b32_e32 v3, v1
; %bb.199:
	s_or_b64 exec, exec, s[2:3]
	v_and_b32_e32 v7, 16, v5
	v_mov_b32_dpp v1, v9 row_bcast:15 row_mask:0xf bank_mask:0xf
	v_mov_b32_dpp v6, v2 row_bcast:15 row_mask:0xf bank_mask:0xf
	v_cmp_ne_u32_e32 vcc, 0, v7
	s_and_saveexec_b64 s[2:3], vcc
; %bb.200:
	v_add_co_u32_e32 v9, vcc, v3, v1
	v_addc_co_u32_e32 v2, vcc, 0, v4, vcc
	v_add_co_u32_e32 v1, vcc, 0, v9
	v_addc_co_u32_e32 v2, vcc, v6, v2, vcc
	v_mov_b32_e32 v4, v2
	v_mov_b32_e32 v3, v1
; %bb.201:
	s_or_b64 exec, exec, s[2:3]
	v_mov_b32_dpp v6, v9 row_bcast:31 row_mask:0xf bank_mask:0xf
	v_add_co_u32_e64 v6, s[2:3], v3, v6
	v_mov_b32_dpp v1, v2 row_bcast:31 row_mask:0xf bank_mask:0xf
	v_addc_co_u32_e64 v2, s[2:3], 0, v4, s[2:3]
	v_lshrrev_b32_e32 v7, 6, v0
	v_or_b32_e32 v8, 63, v0
	v_cmp_lt_u32_e32 vcc, 31, v5
	v_cmp_eq_u32_e64 s[2:3], v0, v8
	v_lshlrev_b32_e32 v7, 3, v7
	s_and_saveexec_b64 s[4:5], s[2:3]
; %bb.202:
	v_add_co_u32_e64 v8, s[2:3], 0, v6
	v_addc_co_u32_e64 v1, s[2:3], v1, v2, s[2:3]
	v_cndmask_b32_e32 v2, v4, v1, vcc
	v_cndmask_b32_e32 v1, v3, v8, vcc
	ds_write_b64 v7, v[1:2] offset:18432
; %bb.203:
	s_or_b64 exec, exec, s[4:5]
	v_cmp_gt_u32_e64 s[2:3], 4, v0
	s_waitcnt lgkmcnt(0)
	s_barrier
	s_and_saveexec_b64 s[4:5], s[2:3]
	s_cbranch_execz .LBB23_207
; %bb.204:
	v_add_u32_e32 v3, v25, v24
	ds_read_b64 v[1:2], v3
	v_and_b32_e32 v4, 3, v5
	v_cmp_ne_u32_e64 s[2:3], 0, v4
	s_waitcnt lgkmcnt(0)
	v_mov_b32_dpp v11, v1 row_shr:1 row_mask:0xf bank_mask:0xf
	v_mov_b32_dpp v10, v2 row_shr:1 row_mask:0xf bank_mask:0xf
	v_mov_b32_e32 v8, v1
	s_and_saveexec_b64 s[26:27], s[2:3]
; %bb.205:
	v_add_co_u32_e64 v8, s[2:3], v1, v11
	v_addc_co_u32_e64 v2, s[2:3], 0, v2, s[2:3]
	v_add_co_u32_e64 v1, s[2:3], 0, v8
	v_addc_co_u32_e64 v2, s[2:3], v10, v2, s[2:3]
; %bb.206:
	s_or_b64 exec, exec, s[26:27]
	v_mov_b32_dpp v8, v8 row_shr:2 row_mask:0xf bank_mask:0xf
	v_add_co_u32_e64 v8, s[2:3], v1, v8
	v_addc_co_u32_e64 v11, s[2:3], 0, v2, s[2:3]
	v_mov_b32_dpp v10, v2 row_shr:2 row_mask:0xf bank_mask:0xf
	v_add_co_u32_e64 v8, s[2:3], 0, v8
	v_addc_co_u32_e64 v10, s[2:3], v11, v10, s[2:3]
	v_cmp_lt_u32_e64 s[2:3], 1, v4
	v_cndmask_b32_e64 v2, v2, v10, s[2:3]
	v_cndmask_b32_e64 v1, v1, v8, s[2:3]
	ds_write_b64 v3, v[1:2]
.LBB23_207:
	s_or_b64 exec, exec, s[4:5]
	v_mov_b32_e32 v1, 0
	v_mov_b32_e32 v2, 0
	;; [unrolled: 1-line block ×3, first 2 shown]
	v_cmp_lt_u32_e64 s[2:3], 63, v0
	s_waitcnt lgkmcnt(0)
	s_barrier
	v_mov_b32_e32 v4, 0
	s_and_saveexec_b64 s[4:5], s[2:3]
; %bb.208:
	ds_read_b64 v[3:4], v7 offset:18424
; %bb.209:
	s_or_b64 exec, exec, s[4:5]
	s_waitcnt lgkmcnt(0)
	v_cndmask_b32_e32 v4, v9, v6, vcc
	v_subrev_co_u32_e32 v6, vcc, 1, v5
	v_and_b32_e32 v7, 64, v5
	v_cmp_lt_i32_e64 s[2:3], v6, v7
	v_cndmask_b32_e64 v5, v6, v5, s[2:3]
	v_add_u32_e32 v4, v4, v3
	v_lshlrev_b32_e32 v5, 2, v5
	ds_bpermute_b32 v4, v5, v4
	s_movk_i32 s15, 0x4818
	s_waitcnt lgkmcnt(0)
	v_cndmask_b32_e32 v5, v4, v3, vcc
.LBB23_210:
	v_mov_b32_e32 v3, s15
	ds_read_b64 v[3:4], v3
	s_xor_b64 s[2:3], s[8:9], -1
	s_xor_b64 s[4:5], s[16:17], -1
	;; [unrolled: 1-line block ×5, first 2 shown]
	s_waitcnt lgkmcnt(1)
	v_sub_u32_e32 v5, v5, v1
	s_waitcnt lgkmcnt(0)
	s_barrier
	s_and_saveexec_b64 s[20:21], s[22:23]
	s_cbranch_execnz .LBB23_256
; %bb.211:
	s_or_b64 exec, exec, s[20:21]
	s_and_saveexec_b64 s[20:21], s[18:19]
	s_cbranch_execnz .LBB23_257
.LBB23_212:
	s_or_b64 exec, exec, s[20:21]
	s_and_saveexec_b64 s[18:19], s[16:17]
	s_cbranch_execnz .LBB23_258
.LBB23_213:
	s_or_b64 exec, exec, s[18:19]
	s_and_saveexec_b64 s[16:17], s[8:9]
	s_cbranch_execnz .LBB23_259
.LBB23_214:
	s_or_b64 exec, exec, s[16:17]
	s_and_saveexec_b64 s[8:9], s[4:5]
	s_cbranch_execnz .LBB23_260
.LBB23_215:
	s_or_b64 exec, exec, s[8:9]
	s_and_saveexec_b64 s[4:5], s[2:3]
.LBB23_216:
	v_lshlrev_b32_e32 v6, 2, v5
	v_add_u32_e32 v5, 1, v5
	ds_write_b32 v6, v31 offset:19456
.LBB23_217:
	s_or_b64 exec, exec, s[4:5]
	v_and_b32_e32 v6, 64, v47
	v_cmp_ne_u32_e32 vcc, 0, v6
	s_and_saveexec_b64 s[2:3], vcc
; %bb.218:
	v_lshlrev_b32_e32 v6, 2, v5
	v_add_u32_e32 v5, 1, v5
	ds_write_b32 v6, v32 offset:19456
; %bb.219:
	s_or_b64 exec, exec, s[2:3]
	v_and_b32_e32 v6, 0x80, v46
	v_cmp_ne_u32_e32 vcc, 0, v6
	s_and_saveexec_b64 s[2:3], vcc
; %bb.220:
	v_lshlrev_b32_e32 v6, 2, v5
	v_add_u32_e32 v5, 1, v5
	ds_write_b32 v6, v33 offset:19456
; %bb.221:
	;; [unrolled: 9-line block ×9, first 2 shown]
	s_or_b64 exec, exec, s[2:3]
	v_and_b32_e32 v6, 0x8000, v42
	v_cmp_ne_u32_e32 vcc, 0, v6
	s_and_saveexec_b64 s[2:3], vcc
; %bb.236:
	v_lshlrev_b32_e32 v5, 2, v5
	ds_write_b32 v5, v41 offset:19456
; %bb.237:
	s_or_b64 exec, exec, s[2:3]
	v_cmp_lt_i32_e32 vcc, v0, v3
	s_waitcnt lgkmcnt(0)
	s_barrier
	s_and_saveexec_b64 s[2:3], vcc
	s_cbranch_execz .LBB23_240
; %bb.238:
	v_lshlrev_b64 v[5:6], 2, v[1:2]
	v_mov_b32_e32 v8, s7
	v_add_co_u32_e32 v5, vcc, s6, v5
	v_addc_co_u32_e32 v6, vcc, v8, v6, vcc
	v_add_co_u32_e32 v5, vcc, v5, v24
	v_or_b32_e32 v7, 0x4c00, v24
	v_addc_co_u32_e32 v6, vcc, 0, v6, vcc
	s_mov_b64 s[4:5], 0
	v_mov_b32_e32 v8, v0
.LBB23_239:                             ; =>This Inner Loop Header: Depth=1
	ds_read_b32 v9, v7
	v_add_u32_e32 v8, 0x100, v8
	v_cmp_ge_i32_e32 vcc, v8, v3
	s_or_b64 s[4:5], vcc, s[4:5]
	v_add_u32_e32 v7, 0x400, v7
	s_waitcnt lgkmcnt(0)
	global_store_dword v[5:6], v9, off
	v_add_co_u32_e32 v5, vcc, 0x400, v5
	v_addc_co_u32_e32 v6, vcc, 0, v6, vcc
	s_andn2_b64 exec, exec, s[4:5]
	s_cbranch_execnz .LBB23_239
.LBB23_240:
	s_or_b64 exec, exec, s[2:3]
	s_and_saveexec_b64 s[2:3], s[0:1]
	s_cbranch_execz .LBB23_242
; %bb.241:
	v_add_co_u32_e32 v1, vcc, v3, v1
	v_mov_b32_e32 v5, 0
	v_addc_co_u32_e32 v2, vcc, v4, v2, vcc
	global_store_dwordx2 v5, v[1:2], s[10:11]
.LBB23_242:
	s_or_b64 exec, exec, s[2:3]
	s_mov_b64 s[0:1], 0
.LBB23_243:
	s_and_b64 vcc, exec, s[0:1]
	s_cbranch_vccz .LBB23_456
; %bb.244:
	v_mov_b32_e32 v1, 0
	v_lshlrev_b32_e32 v24, 2, v0
	v_sub_u32_e32 v5, v0, v18
	v_mov_b32_e32 v6, v1
	v_add_co_u32_e32 v4, vcc, v22, v24
	v_lshlrev_b64 v[5:6], 2, v[5:6]
	v_addc_co_u32_e32 v3, vcc, 0, v23, vcc
	v_add_co_u32_e32 v2, vcc, v20, v5
	v_addc_co_u32_e32 v5, vcc, v21, v6, vcc
	v_cmp_lt_i32_e32 vcc, v0, v18
	v_cndmask_b32_e32 v6, v5, v3, vcc
	v_cndmask_b32_e32 v5, v2, v4, vcc
	v_or_b32_e32 v7, 0x100, v0
	global_load_dword v2, v[5:6], off
	s_movk_i32 s0, 0x400
	v_sub_u32_e32 v5, v7, v18
	v_mov_b32_e32 v6, v1
	v_add_co_u32_e32 v8, vcc, s0, v4
	v_lshlrev_b64 v[5:6], 2, v[5:6]
	v_addc_co_u32_e32 v9, vcc, 0, v3, vcc
	v_add_co_u32_e32 v5, vcc, v20, v5
	v_addc_co_u32_e32 v6, vcc, v21, v6, vcc
	v_cmp_lt_i32_e32 vcc, v7, v18
	v_cndmask_b32_e32 v6, v6, v9, vcc
	v_cndmask_b32_e32 v5, v5, v8, vcc
	v_or_b32_e32 v8, 0x200, v0
	global_load_dword v5, v[5:6], off
	s_movk_i32 s0, 0x800
	;; [unrolled: 13-line block ×3, first 2 shown]
	v_sub_u32_e32 v7, v9, v18
	v_mov_b32_e32 v8, v1
	v_add_co_u32_e32 v10, vcc, s0, v4
	v_lshlrev_b64 v[7:8], 2, v[7:8]
	v_addc_co_u32_e32 v11, vcc, 0, v3, vcc
	v_add_co_u32_e32 v7, vcc, v20, v7
	v_addc_co_u32_e32 v8, vcc, v21, v8, vcc
	v_cmp_lt_i32_e32 vcc, v9, v18
	v_cndmask_b32_e32 v8, v8, v11, vcc
	v_cndmask_b32_e32 v7, v7, v10, vcc
	v_or_b32_e32 v10, 0x400, v0
	global_load_dword v7, v[7:8], off
	v_lshlrev_b32_e32 v8, 2, v10
	v_add_co_u32_e32 v11, vcc, v22, v8
	v_sub_u32_e32 v8, v10, v18
	v_mov_b32_e32 v9, v1
	v_lshlrev_b64 v[8:9], 2, v[8:9]
	v_addc_co_u32_e32 v12, vcc, 0, v23, vcc
	v_add_co_u32_e32 v8, vcc, v20, v8
	v_addc_co_u32_e32 v9, vcc, v21, v9, vcc
	v_cmp_lt_i32_e32 vcc, v10, v18
	v_cndmask_b32_e32 v9, v9, v12, vcc
	v_cndmask_b32_e32 v8, v8, v11, vcc
	v_or_b32_e32 v11, 0x500, v0
	global_load_dword v8, v[8:9], off
	s_movk_i32 s0, 0x1400
	v_sub_u32_e32 v9, v11, v18
	v_mov_b32_e32 v10, v1
	v_add_co_u32_e32 v12, vcc, s0, v4
	v_lshlrev_b64 v[9:10], 2, v[9:10]
	v_addc_co_u32_e32 v13, vcc, 0, v3, vcc
	v_add_co_u32_e32 v9, vcc, v20, v9
	v_addc_co_u32_e32 v10, vcc, v21, v10, vcc
	v_cmp_lt_i32_e32 vcc, v11, v18
	v_cndmask_b32_e32 v10, v10, v13, vcc
	v_cndmask_b32_e32 v9, v9, v12, vcc
	v_or_b32_e32 v12, 0x600, v0
	global_load_dword v9, v[9:10], off
	s_movk_i32 s0, 0x1800
	v_sub_u32_e32 v10, v12, v18
	v_mov_b32_e32 v11, v1
	v_add_co_u32_e32 v13, vcc, s0, v4
	;; [unrolled: 13-line block ×3, first 2 shown]
	v_lshlrev_b64 v[11:12], 2, v[11:12]
	v_addc_co_u32_e32 v15, vcc, 0, v3, vcc
	v_add_co_u32_e32 v11, vcc, v20, v11
	v_addc_co_u32_e32 v12, vcc, v21, v12, vcc
	v_cmp_lt_i32_e32 vcc, v13, v18
	v_cndmask_b32_e32 v12, v12, v15, vcc
	v_cndmask_b32_e32 v11, v11, v14, vcc
	v_or_b32_e32 v14, 0x800, v0
	global_load_dword v11, v[11:12], off
	v_lshlrev_b32_e32 v12, 2, v14
	v_add_co_u32_e32 v15, vcc, v22, v12
	v_sub_u32_e32 v12, v14, v18
	v_mov_b32_e32 v13, v1
	v_lshlrev_b64 v[12:13], 2, v[12:13]
	v_addc_co_u32_e32 v16, vcc, 0, v23, vcc
	v_add_co_u32_e32 v12, vcc, v20, v12
	v_addc_co_u32_e32 v13, vcc, v21, v13, vcc
	v_cmp_lt_i32_e32 vcc, v14, v18
	v_cndmask_b32_e32 v13, v13, v16, vcc
	v_cndmask_b32_e32 v12, v12, v15, vcc
	v_or_b32_e32 v15, 0x900, v0
	global_load_dword v12, v[12:13], off
	s_movk_i32 s0, 0x2400
	v_sub_u32_e32 v13, v15, v18
	v_mov_b32_e32 v14, v1
	v_add_co_u32_e32 v16, vcc, s0, v4
	v_lshlrev_b64 v[13:14], 2, v[13:14]
	v_addc_co_u32_e32 v17, vcc, 0, v3, vcc
	v_add_co_u32_e32 v13, vcc, v20, v13
	v_addc_co_u32_e32 v14, vcc, v21, v14, vcc
	v_cmp_lt_i32_e32 vcc, v15, v18
	v_cndmask_b32_e32 v14, v14, v17, vcc
	v_cndmask_b32_e32 v13, v13, v16, vcc
	v_or_b32_e32 v16, 0xa00, v0
	global_load_dword v13, v[13:14], off
	s_movk_i32 s0, 0x2800
	v_sub_u32_e32 v14, v16, v18
	v_mov_b32_e32 v15, v1
	v_add_co_u32_e32 v17, vcc, s0, v4
	;; [unrolled: 13-line block ×3, first 2 shown]
	v_lshlrev_b64 v[15:16], 2, v[15:16]
	v_addc_co_u32_e32 v26, vcc, 0, v3, vcc
	v_add_co_u32_e32 v15, vcc, v20, v15
	v_addc_co_u32_e32 v16, vcc, v21, v16, vcc
	v_cmp_lt_i32_e32 vcc, v17, v18
	v_cndmask_b32_e32 v16, v16, v26, vcc
	v_cndmask_b32_e32 v15, v15, v25, vcc
	v_or_b32_e32 v25, 0xc00, v0
	global_load_dword v15, v[15:16], off
	v_lshlrev_b32_e32 v16, 2, v25
	v_add_co_u32_e32 v22, vcc, v22, v16
	v_sub_u32_e32 v16, v25, v18
	v_mov_b32_e32 v17, v1
	v_lshlrev_b64 v[16:17], 2, v[16:17]
	v_addc_co_u32_e32 v23, vcc, 0, v23, vcc
	v_add_co_u32_e32 v16, vcc, v20, v16
	v_addc_co_u32_e32 v17, vcc, v21, v17, vcc
	v_cmp_lt_i32_e32 vcc, v25, v18
	v_cndmask_b32_e32 v17, v17, v23, vcc
	v_cndmask_b32_e32 v16, v16, v22, vcc
	global_load_dword v16, v[16:17], off
	v_or_b32_e32 v17, 0xd00, v0
	s_movk_i32 s0, 0x3400
	v_sub_u32_e32 v22, v17, v18
	v_mov_b32_e32 v23, v1
	v_add_co_u32_e32 v25, vcc, s0, v4
	v_lshlrev_b64 v[22:23], 2, v[22:23]
	v_addc_co_u32_e32 v26, vcc, 0, v3, vcc
	v_add_co_u32_e32 v22, vcc, v20, v22
	v_addc_co_u32_e32 v23, vcc, v21, v23, vcc
	v_cmp_lt_i32_e32 vcc, v17, v18
	v_cndmask_b32_e32 v23, v23, v26, vcc
	v_cndmask_b32_e32 v22, v22, v25, vcc
	v_or_b32_e32 v25, 0xe00, v0
	global_load_dword v17, v[22:23], off
	s_movk_i32 s0, 0x3800
	v_sub_u32_e32 v22, v25, v18
	v_mov_b32_e32 v23, v1
	v_add_co_u32_e32 v26, vcc, s0, v4
	v_lshlrev_b64 v[22:23], 2, v[22:23]
	v_addc_co_u32_e32 v27, vcc, 0, v3, vcc
	v_add_co_u32_e32 v22, vcc, v20, v22
	v_addc_co_u32_e32 v23, vcc, v21, v23, vcc
	v_cmp_lt_i32_e32 vcc, v25, v18
	v_cndmask_b32_e32 v23, v23, v27, vcc
	v_cndmask_b32_e32 v22, v22, v26, vcc
	global_load_dword v23, v[22:23], off
	v_or_b32_e32 v25, 0xf00, v0
	v_add_u32_e32 v22, v19, v18
	v_cmp_lt_i32_e32 vcc, v25, v22
	v_mov_b32_e32 v26, 0
	s_and_saveexec_b64 s[0:1], vcc
	s_cbranch_execz .LBB23_246
; %bb.245:
	v_add_co_u32_e32 v26, vcc, 0x3c00, v4
	v_addc_co_u32_e32 v27, vcc, 0, v3, vcc
	v_sub_u32_e32 v3, v25, v18
	v_mov_b32_e32 v4, 0
	v_lshlrev_b64 v[3:4], 2, v[3:4]
	v_add_co_u32_e32 v3, vcc, v20, v3
	v_addc_co_u32_e32 v4, vcc, v21, v4, vcc
	v_cmp_lt_i32_e32 vcc, v25, v18
	v_cndmask_b32_e32 v4, v4, v27, vcc
	v_cndmask_b32_e32 v3, v3, v26, vcc
	global_load_dword v26, v[3:4], off
.LBB23_246:
	s_or_b64 exec, exec, s[0:1]
	s_waitcnt vmcnt(13)
	ds_write2st64_b32 v24, v2, v5 offset0:4 offset1:8
	s_waitcnt vmcnt(11)
	ds_write2st64_b32 v24, v6, v7 offset0:12 offset1:16
	;; [unrolled: 2-line block ×8, first 2 shown]
	v_lshlrev_b32_e32 v2, 4, v0
	v_min_i32_e32 v3, v22, v2
	v_sub_u32_e32 v2, v3, v19
	v_max_i32_e32 v2, 0, v2
	v_min_i32_e32 v5, v18, v3
	v_lshlrev_b32_e32 v4, 2, v18
	v_cmp_lt_i32_e32 vcc, v2, v5
	s_waitcnt lgkmcnt(0)
	s_barrier
	s_and_saveexec_b64 s[0:1], vcc
	s_cbranch_execz .LBB23_250
; %bb.247:
	v_lshl_add_u32 v6, v3, 2, v4
	v_add_u32_e32 v6, 0x400, v6
	s_mov_b64 s[2:3], 0
.LBB23_248:                             ; =>This Inner Loop Header: Depth=1
	v_add_u32_e32 v7, v5, v2
	v_lshrrev_b32_e32 v7, 1, v7
	v_not_b32_e32 v9, v7
	v_lshlrev_b32_e32 v8, 2, v7
	v_lshl_add_u32 v9, v9, 2, v6
	ds_read_b32 v8, v8 offset:1024
	ds_read_b32 v9, v9
	v_add_u32_e32 v10, 1, v7
	s_waitcnt lgkmcnt(0)
	v_cmp_lt_i32_e32 vcc, v9, v8
	v_cndmask_b32_e32 v5, v5, v7, vcc
	v_cndmask_b32_e32 v2, v10, v2, vcc
	v_cmp_ge_i32_e32 vcc, v2, v5
	s_or_b64 s[2:3], vcc, s[2:3]
	s_andn2_b64 exec, exec, s[2:3]
	s_cbranch_execnz .LBB23_248
; %bb.249:
	s_or_b64 exec, exec, s[2:3]
.LBB23_250:
	s_or_b64 exec, exec, s[0:1]
	v_sub_u32_e32 v8, v3, v2
	v_cmp_lt_i32_e32 vcc, v8, v19
	v_mov_b32_e32 v6, 0
	s_and_saveexec_b64 s[2:3], vcc
	s_cbranch_execz .LBB23_285
; %bb.251:
	v_lshl_add_u32 v6, v8, 2, v4
	ds_read_b32 v7, v6 offset:1024
	v_mov_b32_e32 v5, 0
	v_cmp_lt_i32_e32 vcc, 0, v2
	v_mov_b32_e32 v9, 0
	s_and_saveexec_b64 s[0:1], vcc
	s_cbranch_execnz .LBB23_261
; %bb.252:
	s_or_b64 exec, exec, s[0:1]
	v_cmp_lt_i32_e32 vcc, v5, v9
	s_and_saveexec_b64 s[0:1], vcc
	s_cbranch_execnz .LBB23_262
.LBB23_253:
	s_or_b64 exec, exec, s[0:1]
	v_cmp_lt_i32_e32 vcc, v5, v9
	s_and_saveexec_b64 s[0:1], vcc
	s_cbranch_execnz .LBB23_263
.LBB23_254:
	s_or_b64 exec, exec, s[0:1]
	v_cmp_lt_i32_e32 vcc, v5, v9
	s_and_saveexec_b64 s[0:1], vcc
	s_cbranch_execnz .LBB23_264
.LBB23_255:
	s_or_b64 exec, exec, s[0:1]
	v_cmp_lt_i32_e32 vcc, v5, v9
	s_and_saveexec_b64 s[0:1], vcc
	s_cbranch_execnz .LBB23_265
	s_branch .LBB23_268
.LBB23_256:
	v_lshlrev_b32_e32 v6, 2, v5
	v_add_u32_e32 v5, 1, v5
	ds_write_b32 v6, v27 offset:19456
	s_or_b64 exec, exec, s[20:21]
	s_and_saveexec_b64 s[20:21], s[18:19]
	s_cbranch_execz .LBB23_212
.LBB23_257:
	v_lshlrev_b32_e32 v6, 2, v5
	v_add_u32_e32 v5, 1, v5
	ds_write_b32 v6, v26 offset:19456
	s_or_b64 exec, exec, s[20:21]
	s_and_saveexec_b64 s[18:19], s[16:17]
	s_cbranch_execz .LBB23_213
.LBB23_258:
	v_lshlrev_b32_e32 v6, 2, v5
	v_add_u32_e32 v5, 1, v5
	ds_write_b32 v6, v28 offset:19456
	s_or_b64 exec, exec, s[18:19]
	s_and_saveexec_b64 s[16:17], s[8:9]
	s_cbranch_execz .LBB23_214
.LBB23_259:
	v_lshlrev_b32_e32 v6, 2, v5
	v_add_u32_e32 v5, 1, v5
	ds_write_b32 v6, v29 offset:19456
	s_or_b64 exec, exec, s[16:17]
	s_and_saveexec_b64 s[8:9], s[4:5]
	s_cbranch_execz .LBB23_215
.LBB23_260:
	v_lshlrev_b32_e32 v6, 2, v5
	v_add_u32_e32 v5, 1, v5
	ds_write_b32 v6, v30 offset:19456
	s_or_b64 exec, exec, s[8:9]
	s_and_saveexec_b64 s[4:5], s[2:3]
	s_cbranch_execnz .LBB23_216
	s_branch .LBB23_217
.LBB23_261:
	s_movk_i32 s4, 0x1ff
	v_mul_lo_u32 v5, v2, s4
	v_ashrrev_i32_e32 v9, 9, v5
	v_lshlrev_b32_e32 v5, 2, v9
	ds_read_b32 v5, v5 offset:1024
	v_add_u32_e32 v10, 1, v9
	s_waitcnt lgkmcnt(0)
	v_cmp_lt_i32_e32 vcc, v5, v7
	v_cndmask_b32_e32 v5, 0, v10, vcc
	v_cndmask_b32_e32 v9, v9, v2, vcc
	s_or_b64 exec, exec, s[0:1]
	v_cmp_lt_i32_e32 vcc, v5, v9
	s_and_saveexec_b64 s[0:1], vcc
	s_cbranch_execz .LBB23_253
.LBB23_262:
	v_sub_u32_e32 v10, v5, v9
	v_lshl_add_u32 v10, v9, 7, v10
	v_ashrrev_i32_e32 v10, 7, v10
	v_lshlrev_b32_e32 v11, 2, v10
	ds_read_b32 v11, v11 offset:1024
	v_add_u32_e32 v12, 1, v10
	s_waitcnt lgkmcnt(0)
	v_cmp_lt_i32_e32 vcc, v11, v7
	v_cndmask_b32_e32 v5, v5, v12, vcc
	v_cndmask_b32_e32 v9, v10, v9, vcc
	s_or_b64 exec, exec, s[0:1]
	v_cmp_lt_i32_e32 vcc, v5, v9
	s_and_saveexec_b64 s[0:1], vcc
	s_cbranch_execz .LBB23_254
.LBB23_263:
	v_sub_u32_e32 v10, v5, v9
	v_lshl_add_u32 v10, v9, 5, v10
	v_ashrrev_i32_e32 v10, 5, v10
	v_lshlrev_b32_e32 v11, 2, v10
	ds_read_b32 v11, v11 offset:1024
	v_add_u32_e32 v12, 1, v10
	s_waitcnt lgkmcnt(0)
	v_cmp_lt_i32_e32 vcc, v11, v7
	v_cndmask_b32_e32 v5, v5, v12, vcc
	v_cndmask_b32_e32 v9, v10, v9, vcc
	s_or_b64 exec, exec, s[0:1]
	v_cmp_lt_i32_e32 vcc, v5, v9
	s_and_saveexec_b64 s[0:1], vcc
	s_cbranch_execz .LBB23_255
.LBB23_264:
	v_sub_u32_e32 v10, v5, v9
	v_lshl_add_u32 v10, v9, 4, v10
	v_ashrrev_i32_e32 v10, 4, v10
	v_lshlrev_b32_e32 v11, 2, v10
	ds_read_b32 v11, v11 offset:1024
	v_add_u32_e32 v12, 1, v10
	s_waitcnt lgkmcnt(0)
	v_cmp_lt_i32_e32 vcc, v11, v7
	v_cndmask_b32_e32 v5, v5, v12, vcc
	v_cndmask_b32_e32 v9, v10, v9, vcc
	s_or_b64 exec, exec, s[0:1]
	v_cmp_lt_i32_e32 vcc, v5, v9
	s_and_saveexec_b64 s[0:1], vcc
	s_cbranch_execz .LBB23_268
.LBB23_265:
	s_mov_b64 s[4:5], 0
.LBB23_266:                             ; =>This Inner Loop Header: Depth=1
	v_sub_u32_e32 v10, v5, v9
	v_lshl_add_u32 v10, v9, 1, v10
	v_ashrrev_i32_e32 v10, 1, v10
	v_lshlrev_b32_e32 v11, 2, v10
	ds_read_b32 v11, v11 offset:1024
	v_add_u32_e32 v12, 1, v10
	s_waitcnt lgkmcnt(0)
	v_cmp_lt_i32_e32 vcc, v11, v7
	v_cndmask_b32_e32 v5, v5, v12, vcc
	v_cndmask_b32_e32 v9, v10, v9, vcc
	v_cmp_ge_i32_e32 vcc, v5, v9
	s_or_b64 s[4:5], vcc, s[4:5]
	s_andn2_b64 exec, exec, s[4:5]
	s_cbranch_execnz .LBB23_266
; %bb.267:
	s_or_b64 exec, exec, s[4:5]
.LBB23_268:
	s_or_b64 exec, exec, s[0:1]
	v_mov_b32_e32 v9, 0
	v_cmp_lt_i32_e32 vcc, 0, v8
	v_mov_b32_e32 v10, v8
	s_and_saveexec_b64 s[0:1], vcc
	s_cbranch_execnz .LBB23_273
; %bb.269:
	s_or_b64 exec, exec, s[0:1]
	v_cmp_lt_i32_e32 vcc, v9, v10
	s_and_saveexec_b64 s[0:1], vcc
	s_cbranch_execnz .LBB23_274
.LBB23_270:
	s_or_b64 exec, exec, s[0:1]
	v_cmp_lt_i32_e32 vcc, v9, v10
	s_and_saveexec_b64 s[0:1], vcc
	s_cbranch_execnz .LBB23_275
.LBB23_271:
	s_or_b64 exec, exec, s[0:1]
	v_cmp_lt_i32_e32 vcc, v9, v10
	s_and_saveexec_b64 s[0:1], vcc
	s_cbranch_execnz .LBB23_276
.LBB23_272:
	s_or_b64 exec, exec, s[0:1]
	v_cmp_lt_i32_e32 vcc, v9, v10
	s_and_saveexec_b64 s[0:1], vcc
	s_cbranch_execnz .LBB23_277
	s_branch .LBB23_280
.LBB23_273:
	s_movk_i32 s4, 0x1ff
	v_mul_lo_u32 v9, v8, s4
	v_lshrrev_b32_e32 v10, 9, v9
	v_lshl_add_u32 v9, v10, 2, v4
	ds_read_b32 v9, v9 offset:1024
	v_add_u32_e32 v11, 1, v10
	s_waitcnt lgkmcnt(0)
	v_cmp_lt_i32_e32 vcc, v9, v7
	v_cndmask_b32_e32 v9, 0, v11, vcc
	v_cndmask_b32_e32 v10, v10, v8, vcc
	s_or_b64 exec, exec, s[0:1]
	v_cmp_lt_i32_e32 vcc, v9, v10
	s_and_saveexec_b64 s[0:1], vcc
	s_cbranch_execz .LBB23_270
.LBB23_274:
	v_sub_u32_e32 v11, v9, v10
	v_lshl_add_u32 v11, v10, 7, v11
	v_ashrrev_i32_e32 v11, 7, v11
	v_lshl_add_u32 v12, v11, 2, v4
	ds_read_b32 v12, v12 offset:1024
	v_add_u32_e32 v13, 1, v11
	s_waitcnt lgkmcnt(0)
	v_cmp_lt_i32_e32 vcc, v12, v7
	v_cndmask_b32_e32 v9, v9, v13, vcc
	v_cndmask_b32_e32 v10, v11, v10, vcc
	s_or_b64 exec, exec, s[0:1]
	v_cmp_lt_i32_e32 vcc, v9, v10
	s_and_saveexec_b64 s[0:1], vcc
	s_cbranch_execz .LBB23_271
.LBB23_275:
	v_sub_u32_e32 v11, v9, v10
	v_lshl_add_u32 v11, v10, 5, v11
	v_ashrrev_i32_e32 v11, 5, v11
	v_lshl_add_u32 v12, v11, 2, v4
	ds_read_b32 v12, v12 offset:1024
	v_add_u32_e32 v13, 1, v11
	s_waitcnt lgkmcnt(0)
	v_cmp_lt_i32_e32 vcc, v12, v7
	v_cndmask_b32_e32 v9, v9, v13, vcc
	v_cndmask_b32_e32 v10, v11, v10, vcc
	s_or_b64 exec, exec, s[0:1]
	v_cmp_lt_i32_e32 vcc, v9, v10
	s_and_saveexec_b64 s[0:1], vcc
	s_cbranch_execz .LBB23_272
.LBB23_276:
	v_sub_u32_e32 v11, v9, v10
	v_lshl_add_u32 v11, v10, 4, v11
	v_ashrrev_i32_e32 v11, 4, v11
	v_lshl_add_u32 v12, v11, 2, v4
	ds_read_b32 v12, v12 offset:1024
	v_add_u32_e32 v13, 1, v11
	s_waitcnt lgkmcnt(0)
	v_cmp_lt_i32_e32 vcc, v12, v7
	v_cndmask_b32_e32 v9, v9, v13, vcc
	v_cndmask_b32_e32 v10, v11, v10, vcc
	s_or_b64 exec, exec, s[0:1]
	v_cmp_lt_i32_e32 vcc, v9, v10
	s_and_saveexec_b64 s[0:1], vcc
	s_cbranch_execz .LBB23_280
.LBB23_277:
	s_mov_b64 s[4:5], 0
.LBB23_278:                             ; =>This Inner Loop Header: Depth=1
	v_sub_u32_e32 v11, v9, v10
	v_lshl_add_u32 v11, v10, 1, v11
	v_ashrrev_i32_e32 v11, 1, v11
	v_lshl_add_u32 v12, v11, 2, v4
	ds_read_b32 v12, v12 offset:1024
	v_add_u32_e32 v13, 1, v11
	s_waitcnt lgkmcnt(0)
	v_cmp_lt_i32_e32 vcc, v12, v7
	v_cndmask_b32_e32 v9, v9, v13, vcc
	v_cndmask_b32_e32 v10, v11, v10, vcc
	v_cmp_ge_i32_e32 vcc, v9, v10
	s_or_b64 s[4:5], vcc, s[4:5]
	s_andn2_b64 exec, exec, s[4:5]
	s_cbranch_execnz .LBB23_278
; %bb.279:
	s_or_b64 exec, exec, s[4:5]
.LBB23_280:
	s_or_b64 exec, exec, s[0:1]
	v_sub_u32_e32 v2, v2, v5
	v_sub_u32_e32 v11, v8, v9
	v_add_u32_e32 v10, v11, v2
	v_ashrrev_i32_e32 v2, 1, v10
	v_max_i32_e32 v2, v2, v11
	v_add3_u32 v9, v9, v2, 1
	v_min_i32_e32 v9, v9, v19
	v_sub_u32_e32 v9, v9, v8
	v_mov_b32_e32 v8, 0
	v_cmp_lt_i32_e32 vcc, 0, v9
	s_and_saveexec_b64 s[0:1], vcc
	s_cbranch_execz .LBB23_284
; %bb.281:
	v_mov_b32_e32 v8, 0
	s_mov_b64 s[4:5], 0
.LBB23_282:                             ; =>This Inner Loop Header: Depth=1
	v_add_u32_e32 v12, v8, v9
	v_lshrrev_b32_e32 v12, 1, v12
	v_lshl_add_u32 v13, v12, 2, v6
	ds_read_b32 v13, v13 offset:1024
	v_add_u32_e32 v14, 1, v12
	s_waitcnt lgkmcnt(0)
	v_cmp_lt_i32_e32 vcc, v7, v13
	v_cndmask_b32_e32 v8, v14, v8, vcc
	v_cndmask_b32_e32 v9, v9, v12, vcc
	v_cmp_ge_i32_e32 vcc, v8, v9
	s_or_b64 s[4:5], vcc, s[4:5]
	s_andn2_b64 exec, exec, s[4:5]
	s_cbranch_execnz .LBB23_282
; %bb.283:
	s_or_b64 exec, exec, s[4:5]
.LBB23_284:
	s_or_b64 exec, exec, s[0:1]
	v_add_u32_e32 v6, v8, v11
	s_waitcnt lgkmcnt(0)
	v_min_i32_e32 v7, v6, v2
	v_sub_u32_e32 v8, v10, v7
	v_add_u32_e32 v7, 1, v7
	v_cmp_eq_u32_e32 vcc, v8, v7
	v_cmp_lt_i32_e64 s[0:1], v2, v6
	s_and_b64 s[0:1], s[0:1], vcc
	v_cndmask_b32_e64 v6, 0, 1, s[0:1]
	v_add_u32_e32 v2, v8, v5
.LBB23_285:
	s_or_b64 exec, exec, s[2:3]
	v_add_u32_e32 v3, v6, v3
	v_sub_u32_e32 v3, v3, v2
	v_lshlrev_b32_e32 v5, 16, v18
	v_or_b32_e32 v5, v5, v19
	v_lshl_or_b32 v6, v2, 16, v3
	v_subrev_co_u32_e64 v7, s[0:1], 1, v0
	v_cndmask_b32_e64 v5, v6, v5, s[0:1]
	v_mov_b32_e32 v6, 0xff
	v_cndmask_b32_e64 v6, v7, v6, s[0:1]
	v_lshlrev_b32_e32 v6, 2, v6
	v_lshlrev_b32_e32 v7, 2, v2
	ds_write_b32 v6, v5
	s_waitcnt lgkmcnt(0)
	s_barrier
	v_lshl_add_u32 v9, v3, 2, v4
	ds_read_b32 v20, v7 offset:1024
	ds_read_b32 v5, v9 offset:1024
	ds_read_b32 v4, v24
	v_mov_b32_e32 v6, v2
	s_waitcnt lgkmcnt(2)
	v_mov_b32_e32 v19, v20
	s_waitcnt lgkmcnt(1)
	v_cmp_ge_i32_e32 vcc, v5, v20
	s_and_saveexec_b64 s[2:3], vcc
; %bb.286:
	ds_read_b32 v19, v7 offset:1028
	v_add_u32_e32 v6, 1, v2
; %bb.287:
	s_or_b64 exec, exec, s[2:3]
	v_add_u32_e32 v7, v3, v18
	v_cmp_ge_i32_e32 vcc, v20, v5
	v_mov_b32_e32 v8, v5
	s_and_saveexec_b64 s[2:3], vcc
; %bb.288:
	ds_read_b32 v8, v9 offset:1028
	v_add_u32_e32 v7, 1, v7
; %bb.289:
	s_or_b64 exec, exec, s[2:3]
	s_waitcnt lgkmcnt(0)
	v_cmp_ge_i32_e32 vcc, v8, v19
	v_mov_b32_e32 v21, v19
	v_mov_b32_e32 v9, v6
	s_and_saveexec_b64 s[2:3], vcc
; %bb.290:
	v_lshlrev_b32_e32 v9, 2, v6
	ds_read_b32 v21, v9 offset:1028
	v_add_u32_e32 v9, 1, v6
; %bb.291:
	s_or_b64 exec, exec, s[2:3]
	v_cmp_ge_i32_e32 vcc, v19, v8
	v_mov_b32_e32 v10, v8
	v_mov_b32_e32 v11, v7
	s_and_saveexec_b64 s[2:3], vcc
; %bb.292:
	v_lshlrev_b32_e32 v10, 2, v7
	ds_read_b32 v10, v10 offset:1028
	v_add_u32_e32 v11, 1, v7
; %bb.293:
	s_or_b64 exec, exec, s[2:3]
	s_waitcnt lgkmcnt(0)
	v_cmp_ge_i32_e32 vcc, v10, v21
	v_mov_b32_e32 v22, v21
	v_mov_b32_e32 v12, v9
	s_and_saveexec_b64 s[2:3], vcc
; %bb.294:
	v_lshlrev_b32_e32 v12, 2, v9
	ds_read_b32 v22, v12 offset:1028
	v_add_u32_e32 v12, 1, v9
; %bb.295:
	s_or_b64 exec, exec, s[2:3]
	v_cmp_ge_i32_e32 vcc, v21, v10
	v_mov_b32_e32 v13, v10
	v_mov_b32_e32 v14, v11
	s_and_saveexec_b64 s[2:3], vcc
; %bb.296:
	v_lshlrev_b32_e32 v13, 2, v11
	;; [unrolled: 21-line block ×14, first 2 shown]
	ds_read_b32 v68, v67 offset:1028
	v_add_u32_e32 v67, 1, v65
; %bb.345:
	s_or_b64 exec, exec, s[2:3]
	v_add_u32_sdwa v18, v4, v18 dst_sel:DWORD dst_unused:UNUSED_PAD src0_sel:WORD_0 src1_sel:DWORD
	v_cmp_ge_i32_sdwa s[4:5], v66, sext(v4) src0_sel:DWORD src1_sel:WORD_1
	v_cmp_ge_i32_e64 s[2:3], v67, v18
	s_waitcnt lgkmcnt(0)
	v_cmp_ne_u32_e32 vcc, v68, v35
	s_or_b64 s[2:3], s[4:5], s[2:3]
	v_mov_b32_e32 v66, 0x8000
	s_or_b64 s[2:3], vcc, s[2:3]
	v_cndmask_b32_e64 v66, v66, 0, s[2:3]
	v_cmp_ge_i32_sdwa s[4:5], v63, sext(v4) src0_sel:DWORD src1_sel:WORD_1
	v_cmp_ge_i32_e64 s[2:3], v65, v18
	v_cmp_ne_u32_e32 vcc, v64, v34
	s_or_b64 s[2:3], s[4:5], s[2:3]
	v_mov_b32_e32 v63, 0x4000
	s_or_b64 s[2:3], vcc, s[2:3]
	v_cndmask_b32_e64 v63, v63, 0, s[2:3]
	v_cmp_ge_i32_sdwa s[4:5], v60, sext(v4) src0_sel:DWORD src1_sel:WORD_1
	v_cmp_ge_i32_e64 s[2:3], v62, v18
	;; [unrolled: 7-line block ×9, first 2 shown]
	v_cmp_ne_u32_e32 vcc, v40, v26
	s_or_b64 s[2:3], s[4:5], s[2:3]
	s_or_b64 s[2:3], vcc, s[2:3]
	v_cndmask_b32_e64 v39, 64, 0, s[2:3]
	v_cmp_ge_i32_sdwa s[4:5], v36, sext(v4) src0_sel:DWORD src1_sel:WORD_1
	v_cmp_ge_i32_e64 s[2:3], v38, v18
	v_cmp_ne_u32_e32 vcc, v37, v25
	s_or_b64 s[2:3], s[4:5], s[2:3]
	s_or_b64 s[8:9], vcc, s[2:3]
	v_cmp_ge_i32_sdwa s[10:11], v15, sext(v4) src0_sel:DWORD src1_sel:WORD_1
	v_cmp_ge_i32_e64 s[2:3], v17, v18
	v_cmp_ne_u32_e32 vcc, v16, v23
	s_or_b64 s[2:3], s[10:11], s[2:3]
	s_or_b64 s[10:11], vcc, s[2:3]
	;; [unrolled: 5-line block ×5, first 2 shown]
	v_cmp_gt_i32_sdwa s[2:3], sext(v4), v2 src0_sel:WORD_1 src1_sel:DWORD
	v_cmp_gt_i32_sdwa s[20:21], v4, v3 src0_sel:WORD_0 src1_sel:DWORD
	v_cmp_eq_u32_e32 vcc, v5, v20
	s_and_b64 s[2:3], s[2:3], s[20:21]
	s_and_b64 s[20:21], s[2:3], vcc
	v_cndmask_b32_e64 v9, 4, 0, s[18:19]
	v_cndmask_b32_e64 v6, 2, 0, s[22:23]
	;; [unrolled: 1-line block ×5, first 2 shown]
	v_or3_b32 v2, v6, v2, v9
	v_cndmask_b32_e64 v36, 32, 0, s[8:9]
	v_or3_b32 v2, v2, v12, v15
	v_or3_b32 v41, v2, v36, v39
	v_or_b32_e32 v40, v42, v41
	v_or3_b32 v39, v45, v48, v40
	v_or3_b32 v38, v51, v54, v39
	;; [unrolled: 1-line block ×4, first 2 shown]
	s_mov_b64 s[4:5], -1
	v_bcnt_u32_b32 v10, v36, 0
	v_mov_b32_e32 v11, 0
	s_cmp_lg_u32 s14, 0
	v_mbcnt_lo_u32_b32 v42, -1, 0
	s_barrier
	s_cbranch_scc0 .LBB23_399
; %bb.346:
	v_mbcnt_hi_u32_b32 v17, -1, v42
	v_and_b32_e32 v7, 15, v17
	v_mov_b32_e32 v4, v10
	v_mov_b32_dpp v2, v10 row_shr:1 row_mask:0xf bank_mask:0xf
	v_mov_b32_dpp v8, v11 row_shr:1 row_mask:0xf bank_mask:0xf
	v_cmp_ne_u32_e32 vcc, 0, v7
	v_mov_b32_e32 v6, v10
	v_mov_b32_e32 v3, v11
	;; [unrolled: 1-line block ×3, first 2 shown]
	s_and_saveexec_b64 s[2:3], vcc
; %bb.347:
	v_add_co_u32_e32 v6, vcc, v2, v10
	v_addc_co_u32_e64 v3, s[4:5], 0, 0, vcc
	v_add_co_u32_e32 v2, vcc, 0, v6
	v_addc_co_u32_e32 v3, vcc, v8, v3, vcc
	v_mov_b32_e32 v5, v3
	v_mov_b32_e32 v4, v2
; %bb.348:
	s_or_b64 exec, exec, s[2:3]
	v_mov_b32_dpp v2, v6 row_shr:2 row_mask:0xf bank_mask:0xf
	v_mov_b32_dpp v8, v3 row_shr:2 row_mask:0xf bank_mask:0xf
	v_cmp_lt_u32_e32 vcc, 1, v7
	s_and_saveexec_b64 s[2:3], vcc
; %bb.349:
	v_add_co_u32_e32 v6, vcc, v4, v2
	v_addc_co_u32_e32 v3, vcc, 0, v5, vcc
	v_add_co_u32_e32 v2, vcc, 0, v6
	v_addc_co_u32_e32 v3, vcc, v8, v3, vcc
	v_mov_b32_e32 v5, v3
	v_mov_b32_e32 v4, v2
; %bb.350:
	s_or_b64 exec, exec, s[2:3]
	v_mov_b32_dpp v2, v6 row_shr:4 row_mask:0xf bank_mask:0xf
	v_mov_b32_dpp v8, v3 row_shr:4 row_mask:0xf bank_mask:0xf
	v_cmp_lt_u32_e32 vcc, 3, v7
	s_and_saveexec_b64 s[2:3], vcc
; %bb.351:
	v_add_co_u32_e32 v6, vcc, v4, v2
	v_addc_co_u32_e32 v3, vcc, 0, v5, vcc
	;; [unrolled: 13-line block ×3, first 2 shown]
	v_add_co_u32_e32 v2, vcc, 0, v6
	v_addc_co_u32_e32 v3, vcc, v8, v3, vcc
	v_mov_b32_e32 v5, v3
	v_mov_b32_e32 v4, v2
; %bb.354:
	s_or_b64 exec, exec, s[2:3]
	v_and_b32_e32 v8, 16, v17
	v_mov_b32_dpp v2, v6 row_bcast:15 row_mask:0xf bank_mask:0xf
	v_mov_b32_dpp v7, v3 row_bcast:15 row_mask:0xf bank_mask:0xf
	v_cmp_ne_u32_e32 vcc, 0, v8
	s_and_saveexec_b64 s[2:3], vcc
; %bb.355:
	v_add_co_u32_e32 v6, vcc, v4, v2
	v_addc_co_u32_e32 v3, vcc, 0, v5, vcc
	v_add_co_u32_e32 v2, vcc, 0, v6
	v_addc_co_u32_e32 v3, vcc, v7, v3, vcc
	v_mov_b32_e32 v5, v3
	v_mov_b32_e32 v4, v2
; %bb.356:
	s_or_b64 exec, exec, s[2:3]
	v_mov_b32_dpp v8, v6 row_bcast:31 row_mask:0xf bank_mask:0xf
	v_add_co_u32_e64 v8, s[2:3], v4, v8
	v_mov_b32_dpp v2, v3 row_bcast:31 row_mask:0xf bank_mask:0xf
	v_addc_co_u32_e64 v3, s[2:3], 0, v5, s[2:3]
	v_or_b32_e32 v9, 63, v0
	v_lshrrev_b32_e32 v7, 6, v0
	v_cmp_lt_u32_e32 vcc, 31, v17
	v_cmp_eq_u32_e64 s[2:3], v0, v9
	s_and_saveexec_b64 s[4:5], s[2:3]
	s_cbranch_execz .LBB23_358
; %bb.357:
	v_add_co_u32_e64 v12, s[2:3], 0, v8
	v_addc_co_u32_e64 v2, s[2:3], v2, v3, s[2:3]
	v_lshlrev_b32_e32 v9, 3, v7
	v_cndmask_b32_e32 v3, v5, v2, vcc
	v_cndmask_b32_e32 v2, v4, v12, vcc
	ds_write_b64 v9, v[2:3]
.LBB23_358:
	s_or_b64 exec, exec, s[4:5]
	v_cmp_gt_u32_e64 s[2:3], 4, v0
	s_waitcnt lgkmcnt(0)
	s_barrier
	s_and_saveexec_b64 s[4:5], s[2:3]
	s_cbranch_execz .LBB23_362
; %bb.359:
	v_lshlrev_b32_e32 v4, 3, v0
	ds_read_b64 v[2:3], v4
	v_and_b32_e32 v5, 3, v17
	v_cmp_ne_u32_e64 s[2:3], 0, v5
	s_waitcnt lgkmcnt(0)
	v_mov_b32_dpp v13, v2 row_shr:1 row_mask:0xf bank_mask:0xf
	v_mov_b32_dpp v12, v3 row_shr:1 row_mask:0xf bank_mask:0xf
	v_mov_b32_e32 v9, v2
	s_and_saveexec_b64 s[24:25], s[2:3]
; %bb.360:
	v_add_co_u32_e64 v9, s[2:3], v2, v13
	v_addc_co_u32_e64 v3, s[2:3], 0, v3, s[2:3]
	v_add_co_u32_e64 v2, s[2:3], 0, v9
	v_addc_co_u32_e64 v3, s[2:3], v12, v3, s[2:3]
; %bb.361:
	s_or_b64 exec, exec, s[24:25]
	v_mov_b32_dpp v9, v9 row_shr:2 row_mask:0xf bank_mask:0xf
	v_add_co_u32_e64 v9, s[2:3], v2, v9
	v_addc_co_u32_e64 v13, s[2:3], 0, v3, s[2:3]
	v_mov_b32_dpp v12, v3 row_shr:2 row_mask:0xf bank_mask:0xf
	v_add_co_u32_e64 v9, s[2:3], 0, v9
	v_addc_co_u32_e64 v12, s[2:3], v13, v12, s[2:3]
	v_cmp_lt_u32_e64 s[2:3], 1, v5
	v_cndmask_b32_e64 v3, v3, v12, s[2:3]
	v_cndmask_b32_e64 v2, v2, v9, s[2:3]
	ds_write_b64 v4, v[2:3]
.LBB23_362:
	s_or_b64 exec, exec, s[4:5]
	v_cndmask_b32_e32 v2, v6, v8, vcc
	v_cmp_gt_u32_e32 vcc, 64, v0
	v_cmp_lt_u32_e64 s[2:3], 63, v0
	s_waitcnt lgkmcnt(0)
	s_barrier
                                        ; implicit-def: $vgpr12_vgpr13
	s_and_saveexec_b64 s[4:5], s[2:3]
	s_cbranch_execz .LBB23_364
; %bb.363:
	v_lshl_add_u32 v3, v7, 3, -8
	ds_read_b64 v[12:13], v3
	s_waitcnt lgkmcnt(0)
	v_add_u32_e32 v2, v2, v12
.LBB23_364:
	s_or_b64 exec, exec, s[4:5]
	v_subrev_co_u32_e64 v3, s[2:3], 1, v17
	v_and_b32_e32 v4, 64, v17
	v_cmp_lt_i32_e64 s[4:5], v3, v4
	v_cndmask_b32_e64 v3, v3, v17, s[4:5]
	v_lshlrev_b32_e32 v3, 2, v3
	ds_bpermute_b32 v43, v3, v2
	s_and_saveexec_b64 s[4:5], vcc
	s_cbranch_execz .LBB23_404
; %bb.365:
	v_mov_b32_e32 v5, 0
	ds_read_b64 v[2:3], v5 offset:24
	s_and_saveexec_b64 s[24:25], s[2:3]
	s_cbranch_execz .LBB23_367
; %bb.366:
	s_add_i32 s26, s14, 64
	s_mov_b32 s27, 0
	s_lshl_b64 s[26:27], s[26:27], 4
	s_add_u32 s26, s12, s26
	s_addc_u32 s27, s13, s27
	v_mov_b32_e32 v6, s26
	v_mov_b32_e32 v4, 1
	;; [unrolled: 1-line block ×3, first 2 shown]
	s_waitcnt lgkmcnt(0)
	;;#ASMSTART
	global_store_dwordx4 v[6:7], v[2:5] off	
s_waitcnt vmcnt(0)
	;;#ASMEND
.LBB23_367:
	s_or_b64 exec, exec, s[24:25]
	v_xad_u32 v13, v17, -1, s14
	v_add_u32_e32 v4, 64, v13
	v_lshlrev_b64 v[6:7], 4, v[4:5]
	v_mov_b32_e32 v4, s13
	v_add_co_u32_e32 v14, vcc, s12, v6
	v_addc_co_u32_e32 v15, vcc, v4, v7, vcc
	;;#ASMSTART
	global_load_dwordx4 v[6:9], v[14:15] off glc	
s_waitcnt vmcnt(0)
	;;#ASMEND
	v_cmp_eq_u16_sdwa s[26:27], v8, v5 src0_sel:BYTE_0 src1_sel:DWORD
	s_and_saveexec_b64 s[24:25], s[26:27]
	s_cbranch_execz .LBB23_371
; %bb.368:
	s_mov_b64 s[26:27], 0
	v_mov_b32_e32 v4, 0
.LBB23_369:                             ; =>This Inner Loop Header: Depth=1
	;;#ASMSTART
	global_load_dwordx4 v[6:9], v[14:15] off glc	
s_waitcnt vmcnt(0)
	;;#ASMEND
	v_cmp_ne_u16_sdwa s[28:29], v8, v4 src0_sel:BYTE_0 src1_sel:DWORD
	s_or_b64 s[26:27], s[28:29], s[26:27]
	s_andn2_b64 exec, exec, s[26:27]
	s_cbranch_execnz .LBB23_369
; %bb.370:
	s_or_b64 exec, exec, s[26:27]
.LBB23_371:
	s_or_b64 exec, exec, s[24:25]
	v_and_b32_e32 v44, 63, v17
	v_mov_b32_e32 v4, 2
	v_lshlrev_b64 v[15:16], v17, -1
	v_cmp_ne_u32_e32 vcc, 63, v44
	v_cmp_eq_u16_sdwa s[24:25], v8, v4 src0_sel:BYTE_0 src1_sel:DWORD
	v_addc_co_u32_e32 v9, vcc, 0, v17, vcc
	v_and_b32_e32 v4, s25, v16
	v_lshlrev_b32_e32 v45, 2, v9
	v_or_b32_e32 v4, 0x80000000, v4
	ds_bpermute_b32 v14, v45, v6
	ds_bpermute_b32 v9, v45, v7
	v_and_b32_e32 v5, s24, v15
	v_ffbl_b32_e32 v4, v4
	v_add_u32_e32 v4, 32, v4
	v_ffbl_b32_e32 v5, v5
	v_min_u32_e32 v4, v5, v4
	v_cmp_lt_u32_e32 vcc, v44, v4
	v_mov_b32_e32 v5, v6
	s_and_saveexec_b64 s[24:25], vcc
	s_cbranch_execz .LBB23_373
; %bb.372:
	s_waitcnt lgkmcnt(1)
	v_add_co_u32_e32 v5, vcc, v6, v14
	v_addc_co_u32_e32 v7, vcc, 0, v7, vcc
	v_add_co_u32_e32 v6, vcc, 0, v5
	s_waitcnt lgkmcnt(0)
	v_addc_co_u32_e32 v7, vcc, v9, v7, vcc
.LBB23_373:
	s_or_b64 exec, exec, s[24:25]
	v_cmp_gt_u32_e32 vcc, 62, v44
	s_waitcnt lgkmcnt(0)
	v_cndmask_b32_e64 v9, 0, 2, vcc
	v_add_lshl_u32 v46, v9, v17, 2
	ds_bpermute_b32 v14, v46, v5
	ds_bpermute_b32 v9, v46, v7
	v_add_u32_e32 v47, 2, v44
	v_cmp_le_u32_e32 vcc, v47, v4
	s_and_saveexec_b64 s[24:25], vcc
	s_cbranch_execz .LBB23_375
; %bb.374:
	s_waitcnt lgkmcnt(1)
	v_add_co_u32_e32 v5, vcc, v6, v14
	v_addc_co_u32_e32 v7, vcc, 0, v7, vcc
	v_add_co_u32_e32 v6, vcc, 0, v5
	s_waitcnt lgkmcnt(0)
	v_addc_co_u32_e32 v7, vcc, v9, v7, vcc
.LBB23_375:
	s_or_b64 exec, exec, s[24:25]
	v_cmp_gt_u32_e32 vcc, 60, v44
	s_waitcnt lgkmcnt(0)
	v_cndmask_b32_e64 v9, 0, 4, vcc
	v_add_lshl_u32 v48, v9, v17, 2
	ds_bpermute_b32 v14, v48, v5
	ds_bpermute_b32 v9, v48, v7
	v_add_u32_e32 v49, 4, v44
	v_cmp_le_u32_e32 vcc, v49, v4
	;; [unrolled: 19-line block ×4, first 2 shown]
	s_and_saveexec_b64 s[24:25], vcc
	s_cbranch_execz .LBB23_381
; %bb.380:
	s_waitcnt lgkmcnt(1)
	v_add_co_u32_e32 v5, vcc, v6, v14
	v_addc_co_u32_e32 v7, vcc, 0, v7, vcc
	v_add_co_u32_e32 v6, vcc, 0, v5
	s_waitcnt lgkmcnt(0)
	v_addc_co_u32_e32 v7, vcc, v9, v7, vcc
.LBB23_381:
	s_or_b64 exec, exec, s[24:25]
	s_waitcnt lgkmcnt(0)
	v_mov_b32_e32 v9, 0x80
	v_lshl_or_b32 v54, v17, 2, v9
	ds_bpermute_b32 v5, v54, v5
	ds_bpermute_b32 v9, v54, v7
	v_add_u32_e32 v55, 32, v44
	v_mov_b32_e32 v14, 0
	v_mov_b32_e32 v56, 2
	s_waitcnt lgkmcnt(1)
	v_add_co_u32_e32 v5, vcc, v6, v5
	v_addc_co_u32_e32 v17, vcc, 0, v7, vcc
	v_add_co_u32_e32 v5, vcc, 0, v5
	s_waitcnt lgkmcnt(0)
	v_addc_co_u32_e32 v9, vcc, v17, v9, vcc
	v_cmp_gt_u32_e32 vcc, v55, v4
	v_cndmask_b32_e32 v7, v9, v7, vcc
	v_cndmask_b32_e32 v6, v5, v6, vcc
	s_branch .LBB23_384
.LBB23_382:                             ;   in Loop: Header=BB23_384 Depth=1
	s_or_b64 exec, exec, s[24:25]
	ds_bpermute_b32 v17, v54, v17
	s_waitcnt lgkmcnt(1)
	ds_bpermute_b32 v18, v54, v7
	v_subrev_u32_e32 v13, 64, v13
	s_mov_b64 s[24:25], 0
	s_waitcnt lgkmcnt(1)
	v_add_co_u32_e32 v17, vcc, v6, v17
	v_addc_co_u32_e32 v57, vcc, 0, v7, vcc
	v_add_co_u32_e32 v17, vcc, 0, v17
	s_waitcnt lgkmcnt(0)
	v_addc_co_u32_e32 v18, vcc, v57, v18, vcc
	v_cmp_gt_u32_e32 vcc, v55, v9
	v_cndmask_b32_e32 v6, v17, v6, vcc
	v_cndmask_b32_e32 v7, v18, v7, vcc
	v_add_co_u32_e32 v6, vcc, v6, v4
	v_addc_co_u32_e32 v7, vcc, v7, v5, vcc
.LBB23_383:                             ;   in Loop: Header=BB23_384 Depth=1
	s_and_b64 vcc, exec, s[24:25]
	s_cbranch_vccnz .LBB23_400
.LBB23_384:                             ; =>This Loop Header: Depth=1
                                        ;     Child Loop BB23_387 Depth 2
	v_mov_b32_e32 v4, v6
	v_cmp_ne_u16_sdwa s[24:25], v8, v56 src0_sel:BYTE_0 src1_sel:DWORD
	v_mov_b32_e32 v5, v7
	s_cmp_lg_u64 s[24:25], exec
	s_mov_b64 s[24:25], -1
                                        ; implicit-def: $vgpr6_vgpr7
                                        ; implicit-def: $vgpr8
	s_cbranch_scc1 .LBB23_383
; %bb.385:                              ;   in Loop: Header=BB23_384 Depth=1
	v_lshlrev_b64 v[6:7], 4, v[13:14]
	v_mov_b32_e32 v8, s13
	v_add_co_u32_e32 v17, vcc, s12, v6
	v_addc_co_u32_e32 v18, vcc, v8, v7, vcc
	;;#ASMSTART
	global_load_dwordx4 v[6:9], v[17:18] off glc	
s_waitcnt vmcnt(0)
	;;#ASMEND
	v_cmp_eq_u16_sdwa s[26:27], v8, v14 src0_sel:BYTE_0 src1_sel:DWORD
	s_and_saveexec_b64 s[24:25], s[26:27]
	s_cbranch_execz .LBB23_389
; %bb.386:                              ;   in Loop: Header=BB23_384 Depth=1
	s_mov_b64 s[26:27], 0
.LBB23_387:                             ;   Parent Loop BB23_384 Depth=1
                                        ; =>  This Inner Loop Header: Depth=2
	;;#ASMSTART
	global_load_dwordx4 v[6:9], v[17:18] off glc	
s_waitcnt vmcnt(0)
	;;#ASMEND
	v_cmp_ne_u16_sdwa s[28:29], v8, v14 src0_sel:BYTE_0 src1_sel:DWORD
	s_or_b64 s[26:27], s[28:29], s[26:27]
	s_andn2_b64 exec, exec, s[26:27]
	s_cbranch_execnz .LBB23_387
; %bb.388:                              ;   in Loop: Header=BB23_384 Depth=1
	s_or_b64 exec, exec, s[26:27]
.LBB23_389:                             ;   in Loop: Header=BB23_384 Depth=1
	s_or_b64 exec, exec, s[24:25]
	v_cmp_eq_u16_sdwa s[24:25], v8, v56 src0_sel:BYTE_0 src1_sel:DWORD
	v_and_b32_e32 v9, s25, v16
	v_or_b32_e32 v9, 0x80000000, v9
	ds_bpermute_b32 v57, v45, v6
	ds_bpermute_b32 v18, v45, v7
	v_and_b32_e32 v17, s24, v15
	v_ffbl_b32_e32 v9, v9
	v_add_u32_e32 v9, 32, v9
	v_ffbl_b32_e32 v17, v17
	v_min_u32_e32 v9, v17, v9
	v_cmp_lt_u32_e32 vcc, v44, v9
	v_mov_b32_e32 v17, v6
	s_and_saveexec_b64 s[24:25], vcc
	s_cbranch_execz .LBB23_391
; %bb.390:                              ;   in Loop: Header=BB23_384 Depth=1
	s_waitcnt lgkmcnt(1)
	v_add_co_u32_e32 v17, vcc, v6, v57
	v_addc_co_u32_e32 v7, vcc, 0, v7, vcc
	v_add_co_u32_e32 v6, vcc, 0, v17
	s_waitcnt lgkmcnt(0)
	v_addc_co_u32_e32 v7, vcc, v18, v7, vcc
.LBB23_391:                             ;   in Loop: Header=BB23_384 Depth=1
	s_or_b64 exec, exec, s[24:25]
	s_waitcnt lgkmcnt(1)
	ds_bpermute_b32 v57, v46, v17
	s_waitcnt lgkmcnt(1)
	ds_bpermute_b32 v18, v46, v7
	v_cmp_le_u32_e32 vcc, v47, v9
	s_and_saveexec_b64 s[24:25], vcc
	s_cbranch_execz .LBB23_393
; %bb.392:                              ;   in Loop: Header=BB23_384 Depth=1
	s_waitcnt lgkmcnt(1)
	v_add_co_u32_e32 v17, vcc, v6, v57
	v_addc_co_u32_e32 v7, vcc, 0, v7, vcc
	v_add_co_u32_e32 v6, vcc, 0, v17
	s_waitcnt lgkmcnt(0)
	v_addc_co_u32_e32 v7, vcc, v18, v7, vcc
.LBB23_393:                             ;   in Loop: Header=BB23_384 Depth=1
	s_or_b64 exec, exec, s[24:25]
	s_waitcnt lgkmcnt(1)
	ds_bpermute_b32 v57, v48, v17
	s_waitcnt lgkmcnt(1)
	ds_bpermute_b32 v18, v48, v7
	v_cmp_le_u32_e32 vcc, v49, v9
	s_and_saveexec_b64 s[24:25], vcc
	s_cbranch_execz .LBB23_395
; %bb.394:                              ;   in Loop: Header=BB23_384 Depth=1
	s_waitcnt lgkmcnt(1)
	v_add_co_u32_e32 v17, vcc, v6, v57
	v_addc_co_u32_e32 v7, vcc, 0, v7, vcc
	v_add_co_u32_e32 v6, vcc, 0, v17
	s_waitcnt lgkmcnt(0)
	v_addc_co_u32_e32 v7, vcc, v18, v7, vcc
.LBB23_395:                             ;   in Loop: Header=BB23_384 Depth=1
	s_or_b64 exec, exec, s[24:25]
	s_waitcnt lgkmcnt(1)
	ds_bpermute_b32 v57, v50, v17
	s_waitcnt lgkmcnt(1)
	ds_bpermute_b32 v18, v50, v7
	v_cmp_le_u32_e32 vcc, v51, v9
	s_and_saveexec_b64 s[24:25], vcc
	s_cbranch_execz .LBB23_397
; %bb.396:                              ;   in Loop: Header=BB23_384 Depth=1
	s_waitcnt lgkmcnt(1)
	v_add_co_u32_e32 v17, vcc, v6, v57
	v_addc_co_u32_e32 v7, vcc, 0, v7, vcc
	v_add_co_u32_e32 v6, vcc, 0, v17
	s_waitcnt lgkmcnt(0)
	v_addc_co_u32_e32 v7, vcc, v18, v7, vcc
.LBB23_397:                             ;   in Loop: Header=BB23_384 Depth=1
	s_or_b64 exec, exec, s[24:25]
	s_waitcnt lgkmcnt(1)
	ds_bpermute_b32 v57, v52, v17
	s_waitcnt lgkmcnt(1)
	ds_bpermute_b32 v18, v52, v7
	v_cmp_le_u32_e32 vcc, v53, v9
	s_and_saveexec_b64 s[24:25], vcc
	s_cbranch_execz .LBB23_382
; %bb.398:                              ;   in Loop: Header=BB23_384 Depth=1
	s_waitcnt lgkmcnt(1)
	v_add_co_u32_e32 v17, vcc, v6, v57
	v_addc_co_u32_e32 v7, vcc, 0, v7, vcc
	v_add_co_u32_e32 v6, vcc, 0, v17
	s_waitcnt lgkmcnt(0)
	v_addc_co_u32_e32 v7, vcc, v18, v7, vcc
	s_branch .LBB23_382
.LBB23_399:
                                        ; implicit-def: $vgpr4_vgpr5
                                        ; implicit-def: $vgpr6_vgpr7
	s_and_b64 vcc, exec, s[4:5]
	s_cbranch_vccnz .LBB23_405
	s_branch .LBB23_426
.LBB23_400:
	s_and_saveexec_b64 s[24:25], s[2:3]
	s_cbranch_execz .LBB23_402
; %bb.401:
	s_add_i32 s14, s14, 64
	s_mov_b32 s15, 0
	s_lshl_b64 s[14:15], s[14:15], 4
	s_add_u32 s14, s12, s14
	v_add_co_u32_e32 v6, vcc, v4, v2
	s_addc_u32 s15, s13, s15
	v_mov_b32_e32 v13, s14
	v_addc_co_u32_e32 v7, vcc, v5, v3, vcc
	v_mov_b32_e32 v8, 2
	v_mov_b32_e32 v9, 0
	;; [unrolled: 1-line block ×3, first 2 shown]
	;;#ASMSTART
	global_store_dwordx4 v[13:14], v[6:9] off	
s_waitcnt vmcnt(0)
	;;#ASMEND
	ds_write_b128 v9, v[2:5] offset:32
.LBB23_402:
	s_or_b64 exec, exec, s[24:25]
	s_and_b64 exec, exec, s[0:1]
; %bb.403:
	v_mov_b32_e32 v2, 0
	ds_write_b64 v2, v[4:5] offset:24
.LBB23_404:
	s_or_b64 exec, exec, s[4:5]
	v_mov_b32_e32 v2, 0
	s_waitcnt lgkmcnt(0)
	s_barrier
	ds_read_b64 v[6:7], v2 offset:24
	s_waitcnt lgkmcnt(0)
	s_barrier
	ds_read_b128 v[2:5], v2 offset:32
	v_cndmask_b32_e64 v8, v43, v12, s[2:3]
	s_waitcnt lgkmcnt(0)
	v_cndmask_b32_e64 v3, v8, 0, s[0:1]
	v_add_co_u32_e32 v6, vcc, v6, v3
	s_branch .LBB23_426
.LBB23_405:
	v_mbcnt_hi_u32_b32 v6, -1, v42
	v_mov_b32_e32 v3, 0
	v_and_b32_e32 v7, 15, v6
	v_mov_b32_e32 v4, v10
	v_mov_b32_dpp v2, v10 row_shr:1 row_mask:0xf bank_mask:0xf
	v_mov_b32_dpp v8, v3 row_shr:1 row_mask:0xf bank_mask:0xf
	v_cmp_ne_u32_e32 vcc, 0, v7
	v_mov_b32_e32 v5, v11
	s_and_saveexec_b64 s[2:3], vcc
; %bb.406:
	v_add_co_u32_e32 v10, vcc, v2, v10
	v_addc_co_u32_e64 v3, s[4:5], 0, 0, vcc
	v_add_co_u32_e32 v2, vcc, 0, v10
	v_addc_co_u32_e32 v3, vcc, v8, v3, vcc
	v_mov_b32_e32 v5, v3
	v_mov_b32_e32 v4, v2
; %bb.407:
	s_or_b64 exec, exec, s[2:3]
	v_mov_b32_dpp v2, v10 row_shr:2 row_mask:0xf bank_mask:0xf
	v_mov_b32_dpp v8, v3 row_shr:2 row_mask:0xf bank_mask:0xf
	v_cmp_lt_u32_e32 vcc, 1, v7
	s_and_saveexec_b64 s[2:3], vcc
; %bb.408:
	v_add_co_u32_e32 v10, vcc, v4, v2
	v_addc_co_u32_e32 v3, vcc, 0, v5, vcc
	v_add_co_u32_e32 v2, vcc, 0, v10
	v_addc_co_u32_e32 v3, vcc, v8, v3, vcc
	v_mov_b32_e32 v5, v3
	v_mov_b32_e32 v4, v2
; %bb.409:
	s_or_b64 exec, exec, s[2:3]
	v_mov_b32_dpp v2, v10 row_shr:4 row_mask:0xf bank_mask:0xf
	v_mov_b32_dpp v8, v3 row_shr:4 row_mask:0xf bank_mask:0xf
	v_cmp_lt_u32_e32 vcc, 3, v7
	s_and_saveexec_b64 s[2:3], vcc
; %bb.410:
	v_add_co_u32_e32 v10, vcc, v4, v2
	v_addc_co_u32_e32 v3, vcc, 0, v5, vcc
	;; [unrolled: 13-line block ×3, first 2 shown]
	v_add_co_u32_e32 v2, vcc, 0, v10
	v_addc_co_u32_e32 v3, vcc, v8, v3, vcc
	v_mov_b32_e32 v5, v3
	v_mov_b32_e32 v4, v2
; %bb.413:
	s_or_b64 exec, exec, s[2:3]
	v_and_b32_e32 v8, 16, v6
	v_mov_b32_dpp v2, v10 row_bcast:15 row_mask:0xf bank_mask:0xf
	v_mov_b32_dpp v7, v3 row_bcast:15 row_mask:0xf bank_mask:0xf
	v_cmp_ne_u32_e32 vcc, 0, v8
	s_and_saveexec_b64 s[2:3], vcc
; %bb.414:
	v_add_co_u32_e32 v10, vcc, v4, v2
	v_addc_co_u32_e32 v3, vcc, 0, v5, vcc
	v_add_co_u32_e32 v2, vcc, 0, v10
	v_addc_co_u32_e32 v3, vcc, v7, v3, vcc
	v_mov_b32_e32 v5, v3
	v_mov_b32_e32 v4, v2
; %bb.415:
	s_or_b64 exec, exec, s[2:3]
	v_mov_b32_dpp v7, v10 row_bcast:31 row_mask:0xf bank_mask:0xf
	v_add_co_u32_e64 v7, s[2:3], v4, v7
	v_mov_b32_dpp v2, v3 row_bcast:31 row_mask:0xf bank_mask:0xf
	v_addc_co_u32_e64 v3, s[2:3], 0, v5, s[2:3]
	v_or_b32_e32 v9, 63, v0
	v_cmp_lt_u32_e32 vcc, 31, v6
	v_lshrrev_b32_e32 v8, 6, v0
	v_cmp_eq_u32_e64 s[2:3], v0, v9
	s_and_saveexec_b64 s[4:5], s[2:3]
	s_cbranch_execz .LBB23_417
; %bb.416:
	v_add_co_u32_e64 v11, s[2:3], 0, v7
	v_addc_co_u32_e64 v2, s[2:3], v2, v3, s[2:3]
	v_lshlrev_b32_e32 v9, 3, v8
	v_cndmask_b32_e32 v3, v5, v2, vcc
	v_cndmask_b32_e32 v2, v4, v11, vcc
	ds_write_b64 v9, v[2:3]
.LBB23_417:
	s_or_b64 exec, exec, s[4:5]
	v_cmp_gt_u32_e64 s[2:3], 4, v0
	s_waitcnt lgkmcnt(0)
	s_barrier
	s_and_saveexec_b64 s[4:5], s[2:3]
	s_cbranch_execz .LBB23_421
; %bb.418:
	v_add_u32_e32 v4, v24, v24
	ds_read_b64 v[2:3], v4
	v_and_b32_e32 v5, 3, v6
	v_cmp_ne_u32_e64 s[2:3], 0, v5
	s_waitcnt lgkmcnt(0)
	v_mov_b32_dpp v12, v2 row_shr:1 row_mask:0xf bank_mask:0xf
	v_mov_b32_dpp v11, v3 row_shr:1 row_mask:0xf bank_mask:0xf
	v_mov_b32_e32 v9, v2
	s_and_saveexec_b64 s[14:15], s[2:3]
; %bb.419:
	v_add_co_u32_e64 v9, s[2:3], v2, v12
	v_addc_co_u32_e64 v3, s[2:3], 0, v3, s[2:3]
	v_add_co_u32_e64 v2, s[2:3], 0, v9
	v_addc_co_u32_e64 v3, s[2:3], v11, v3, s[2:3]
; %bb.420:
	s_or_b64 exec, exec, s[14:15]
	v_mov_b32_dpp v9, v9 row_shr:2 row_mask:0xf bank_mask:0xf
	v_add_co_u32_e64 v9, s[2:3], v2, v9
	v_addc_co_u32_e64 v12, s[2:3], 0, v3, s[2:3]
	v_mov_b32_dpp v11, v3 row_shr:2 row_mask:0xf bank_mask:0xf
	v_add_co_u32_e64 v9, s[2:3], 0, v9
	v_addc_co_u32_e64 v11, s[2:3], v12, v11, s[2:3]
	v_cmp_lt_u32_e64 s[2:3], 1, v5
	v_cndmask_b32_e64 v3, v3, v11, s[2:3]
	v_cndmask_b32_e64 v2, v2, v9, s[2:3]
	ds_write_b64 v4, v[2:3]
.LBB23_421:
	s_or_b64 exec, exec, s[4:5]
	v_mov_b32_e32 v4, 0
	v_cmp_lt_u32_e64 s[2:3], 63, v0
	s_waitcnt lgkmcnt(0)
	s_barrier
	v_mov_b32_e32 v5, 0
	s_and_saveexec_b64 s[4:5], s[2:3]
; %bb.422:
	v_lshl_add_u32 v2, v8, 3, -8
	ds_read_b64 v[4:5], v2
; %bb.423:
	s_or_b64 exec, exec, s[4:5]
	v_cndmask_b32_e32 v2, v10, v7, vcc
	v_subrev_co_u32_e32 v3, vcc, 1, v6
	s_waitcnt lgkmcnt(0)
	v_and_b32_e32 v5, 64, v6
	v_cmp_lt_i32_e64 s[2:3], v3, v5
	v_cndmask_b32_e64 v3, v3, v6, s[2:3]
	v_add_u32_e32 v2, v2, v4
	v_lshlrev_b32_e32 v3, 2, v3
	ds_bpermute_b32 v6, v3, v2
	v_mov_b32_e32 v5, 0
	ds_read_b64 v[2:3], v5 offset:24
	s_waitcnt lgkmcnt(1)
	v_cndmask_b32_e32 v6, v6, v4, vcc
	s_and_saveexec_b64 s[2:3], s[0:1]
	s_cbranch_execz .LBB23_425
; %bb.424:
	s_add_u32 s0, s12, 0x400
	s_addc_u32 s1, s13, 0
	v_mov_b32_e32 v8, s1
	v_mov_b32_e32 v4, 2
	;; [unrolled: 1-line block ×3, first 2 shown]
	s_waitcnt lgkmcnt(0)
	;;#ASMSTART
	global_store_dwordx4 v[7:8], v[2:5] off	
s_waitcnt vmcnt(0)
	;;#ASMEND
.LBB23_425:
	s_or_b64 exec, exec, s[2:3]
	v_mov_b32_e32 v4, 0
	v_mov_b32_e32 v5, 0
.LBB23_426:
	s_xor_b64 s[0:1], s[8:9], -1
	s_xor_b64 s[2:3], s[10:11], -1
	;; [unrolled: 1-line block ×5, first 2 shown]
	s_waitcnt lgkmcnt(0)
	v_sub_u32_e32 v3, v6, v4
	s_barrier
	s_and_saveexec_b64 s[12:13], s[20:21]
	s_cbranch_execnz .LBB23_457
; %bb.427:
	s_or_b64 exec, exec, s[12:13]
	s_and_saveexec_b64 s[12:13], s[10:11]
	s_cbranch_execnz .LBB23_458
.LBB23_428:
	s_or_b64 exec, exec, s[12:13]
	s_and_saveexec_b64 s[10:11], s[8:9]
	s_cbranch_execnz .LBB23_459
.LBB23_429:
	s_or_b64 exec, exec, s[10:11]
	s_and_saveexec_b64 s[8:9], s[4:5]
	s_cbranch_execnz .LBB23_460
.LBB23_430:
	s_or_b64 exec, exec, s[8:9]
	s_and_saveexec_b64 s[4:5], s[2:3]
	s_cbranch_execnz .LBB23_461
.LBB23_431:
	s_or_b64 exec, exec, s[4:5]
	s_and_saveexec_b64 s[2:3], s[0:1]
.LBB23_432:
	v_lshlrev_b32_e32 v6, 2, v3
	v_add_u32_e32 v3, 1, v3
	ds_write_b32 v6, v25 offset:1024
.LBB23_433:
	s_or_b64 exec, exec, s[2:3]
	v_and_b32_e32 v6, 64, v41
	v_cmp_ne_u32_e32 vcc, 0, v6
	s_and_saveexec_b64 s[0:1], vcc
; %bb.434:
	v_lshlrev_b32_e32 v6, 2, v3
	v_add_u32_e32 v3, 1, v3
	ds_write_b32 v6, v26 offset:1024
; %bb.435:
	s_or_b64 exec, exec, s[0:1]
	v_and_b32_e32 v6, 0x80, v40
	v_cmp_ne_u32_e32 vcc, 0, v6
	s_and_saveexec_b64 s[0:1], vcc
; %bb.436:
	v_lshlrev_b32_e32 v6, 2, v3
	v_add_u32_e32 v3, 1, v3
	ds_write_b32 v6, v27 offset:1024
; %bb.437:
	;; [unrolled: 9-line block ×9, first 2 shown]
	s_or_b64 exec, exec, s[0:1]
	v_and_b32_e32 v6, 0x8000, v36
	v_cmp_ne_u32_e32 vcc, 0, v6
	s_and_saveexec_b64 s[0:1], vcc
; %bb.452:
	v_lshlrev_b32_e32 v3, 2, v3
	ds_write_b32 v3, v35 offset:1024
; %bb.453:
	s_or_b64 exec, exec, s[0:1]
	v_cmp_lt_i32_e32 vcc, v0, v2
	s_waitcnt lgkmcnt(0)
	s_barrier
	s_and_saveexec_b64 s[0:1], vcc
	s_cbranch_execz .LBB23_456
; %bb.454:
	v_mov_b32_e32 v3, 0x400
	v_lshl_or_b32 v6, v0, 2, v3
	v_lshlrev_b64 v[3:4], 2, v[4:5]
	v_lshlrev_b64 v[7:8], 2, v[0:1]
	v_mov_b32_e32 v1, s7
	v_add_co_u32_e32 v3, vcc, s6, v3
	v_addc_co_u32_e32 v1, vcc, v1, v4, vcc
	v_add_co_u32_e32 v3, vcc, v3, v7
	v_addc_co_u32_e32 v4, vcc, v1, v8, vcc
	s_mov_b64 s[0:1], 0
.LBB23_455:                             ; =>This Inner Loop Header: Depth=1
	ds_read_b32 v1, v6
	v_add_u32_e32 v0, 0x100, v0
	v_cmp_ge_i32_e32 vcc, v0, v2
	s_or_b64 s[0:1], vcc, s[0:1]
	v_add_u32_e32 v6, 0x400, v6
	s_waitcnt lgkmcnt(0)
	global_store_dword v[3:4], v1, off
	v_add_co_u32_e32 v3, vcc, 0x400, v3
	v_addc_co_u32_e32 v4, vcc, 0, v4, vcc
	s_andn2_b64 exec, exec, s[0:1]
	s_cbranch_execnz .LBB23_455
.LBB23_456:
	s_endpgm
.LBB23_457:
	v_lshlrev_b32_e32 v6, 2, v3
	v_add_u32_e32 v3, 1, v3
	ds_write_b32 v6, v20 offset:1024
	s_or_b64 exec, exec, s[12:13]
	s_and_saveexec_b64 s[12:13], s[10:11]
	s_cbranch_execz .LBB23_428
.LBB23_458:
	v_lshlrev_b32_e32 v6, 2, v3
	v_add_u32_e32 v3, 1, v3
	ds_write_b32 v6, v19 offset:1024
	s_or_b64 exec, exec, s[12:13]
	s_and_saveexec_b64 s[10:11], s[8:9]
	s_cbranch_execz .LBB23_429
.LBB23_459:
	v_lshlrev_b32_e32 v6, 2, v3
	v_add_u32_e32 v3, 1, v3
	ds_write_b32 v6, v21 offset:1024
	s_or_b64 exec, exec, s[10:11]
	s_and_saveexec_b64 s[8:9], s[4:5]
	s_cbranch_execz .LBB23_430
.LBB23_460:
	v_lshlrev_b32_e32 v6, 2, v3
	v_add_u32_e32 v3, 1, v3
	ds_write_b32 v6, v22 offset:1024
	s_or_b64 exec, exec, s[8:9]
	s_and_saveexec_b64 s[4:5], s[2:3]
	s_cbranch_execz .LBB23_431
.LBB23_461:
	v_lshlrev_b32_e32 v6, 2, v3
	v_add_u32_e32 v3, 1, v3
	ds_write_b32 v6, v23 offset:1024
	s_or_b64 exec, exec, s[4:5]
	s_and_saveexec_b64 s[2:3], s[0:1]
	s_cbranch_execnz .LBB23_432
	s_branch .LBB23_433
	.section	.rodata,"a",@progbits
	.p2align	6, 0x0
	.amdhsa_kernel _ZN6thrust23THRUST_200600_302600_NS11hip_rocprim16__set_operations22lookback_set_op_kernelIN7rocprim17ROCPRIM_400000_NS13kernel_configILj256ELj16ELj4294967295EEELb0ENS0_6detail15normal_iteratorINS0_10device_ptrIKiEEEESD_PiSE_lNS9_INSA_IiEEEESE_NS0_4lessIiEENS2_23serial_set_intersectionENS5_6detail19lookback_scan_stateIlLb0ELb1EEEEEvT1_T2_T3_T4_T6_T7_T8_T9_PNS0_4pairIT5_SW_EEPSW_T10_NSK_16ordered_block_idIjEE
		.amdhsa_group_segment_fixed_size 36868
		.amdhsa_private_segment_fixed_size 0
		.amdhsa_kernarg_size 344
		.amdhsa_user_sgpr_count 6
		.amdhsa_user_sgpr_private_segment_buffer 1
		.amdhsa_user_sgpr_dispatch_ptr 0
		.amdhsa_user_sgpr_queue_ptr 0
		.amdhsa_user_sgpr_kernarg_segment_ptr 1
		.amdhsa_user_sgpr_dispatch_id 0
		.amdhsa_user_sgpr_flat_scratch_init 0
		.amdhsa_user_sgpr_private_segment_size 0
		.amdhsa_uses_dynamic_stack 0
		.amdhsa_system_sgpr_private_segment_wavefront_offset 0
		.amdhsa_system_sgpr_workgroup_id_x 1
		.amdhsa_system_sgpr_workgroup_id_y 0
		.amdhsa_system_sgpr_workgroup_id_z 0
		.amdhsa_system_sgpr_workgroup_info 0
		.amdhsa_system_vgpr_workitem_id 2
		.amdhsa_next_free_vgpr 129
		.amdhsa_next_free_sgpr 98
		.amdhsa_reserve_vcc 1
		.amdhsa_reserve_flat_scratch 0
		.amdhsa_float_round_mode_32 0
		.amdhsa_float_round_mode_16_64 0
		.amdhsa_float_denorm_mode_32 3
		.amdhsa_float_denorm_mode_16_64 3
		.amdhsa_dx10_clamp 1
		.amdhsa_ieee_mode 1
		.amdhsa_fp16_overflow 0
		.amdhsa_exception_fp_ieee_invalid_op 0
		.amdhsa_exception_fp_denorm_src 0
		.amdhsa_exception_fp_ieee_div_zero 0
		.amdhsa_exception_fp_ieee_overflow 0
		.amdhsa_exception_fp_ieee_underflow 0
		.amdhsa_exception_fp_ieee_inexact 0
		.amdhsa_exception_int_div_zero 0
	.end_amdhsa_kernel
	.section	.text._ZN6thrust23THRUST_200600_302600_NS11hip_rocprim16__set_operations22lookback_set_op_kernelIN7rocprim17ROCPRIM_400000_NS13kernel_configILj256ELj16ELj4294967295EEELb0ENS0_6detail15normal_iteratorINS0_10device_ptrIKiEEEESD_PiSE_lNS9_INSA_IiEEEESE_NS0_4lessIiEENS2_23serial_set_intersectionENS5_6detail19lookback_scan_stateIlLb0ELb1EEEEEvT1_T2_T3_T4_T6_T7_T8_T9_PNS0_4pairIT5_SW_EEPSW_T10_NSK_16ordered_block_idIjEE,"axG",@progbits,_ZN6thrust23THRUST_200600_302600_NS11hip_rocprim16__set_operations22lookback_set_op_kernelIN7rocprim17ROCPRIM_400000_NS13kernel_configILj256ELj16ELj4294967295EEELb0ENS0_6detail15normal_iteratorINS0_10device_ptrIKiEEEESD_PiSE_lNS9_INSA_IiEEEESE_NS0_4lessIiEENS2_23serial_set_intersectionENS5_6detail19lookback_scan_stateIlLb0ELb1EEEEEvT1_T2_T3_T4_T6_T7_T8_T9_PNS0_4pairIT5_SW_EEPSW_T10_NSK_16ordered_block_idIjEE,comdat
.Lfunc_end23:
	.size	_ZN6thrust23THRUST_200600_302600_NS11hip_rocprim16__set_operations22lookback_set_op_kernelIN7rocprim17ROCPRIM_400000_NS13kernel_configILj256ELj16ELj4294967295EEELb0ENS0_6detail15normal_iteratorINS0_10device_ptrIKiEEEESD_PiSE_lNS9_INSA_IiEEEESE_NS0_4lessIiEENS2_23serial_set_intersectionENS5_6detail19lookback_scan_stateIlLb0ELb1EEEEEvT1_T2_T3_T4_T6_T7_T8_T9_PNS0_4pairIT5_SW_EEPSW_T10_NSK_16ordered_block_idIjEE, .Lfunc_end23-_ZN6thrust23THRUST_200600_302600_NS11hip_rocprim16__set_operations22lookback_set_op_kernelIN7rocprim17ROCPRIM_400000_NS13kernel_configILj256ELj16ELj4294967295EEELb0ENS0_6detail15normal_iteratorINS0_10device_ptrIKiEEEESD_PiSE_lNS9_INSA_IiEEEESE_NS0_4lessIiEENS2_23serial_set_intersectionENS5_6detail19lookback_scan_stateIlLb0ELb1EEEEEvT1_T2_T3_T4_T6_T7_T8_T9_PNS0_4pairIT5_SW_EEPSW_T10_NSK_16ordered_block_idIjEE
                                        ; -- End function
	.set _ZN6thrust23THRUST_200600_302600_NS11hip_rocprim16__set_operations22lookback_set_op_kernelIN7rocprim17ROCPRIM_400000_NS13kernel_configILj256ELj16ELj4294967295EEELb0ENS0_6detail15normal_iteratorINS0_10device_ptrIKiEEEESD_PiSE_lNS9_INSA_IiEEEESE_NS0_4lessIiEENS2_23serial_set_intersectionENS5_6detail19lookback_scan_stateIlLb0ELb1EEEEEvT1_T2_T3_T4_T6_T7_T8_T9_PNS0_4pairIT5_SW_EEPSW_T10_NSK_16ordered_block_idIjEE.num_vgpr, 74
	.set _ZN6thrust23THRUST_200600_302600_NS11hip_rocprim16__set_operations22lookback_set_op_kernelIN7rocprim17ROCPRIM_400000_NS13kernel_configILj256ELj16ELj4294967295EEELb0ENS0_6detail15normal_iteratorINS0_10device_ptrIKiEEEESD_PiSE_lNS9_INSA_IiEEEESE_NS0_4lessIiEENS2_23serial_set_intersectionENS5_6detail19lookback_scan_stateIlLb0ELb1EEEEEvT1_T2_T3_T4_T6_T7_T8_T9_PNS0_4pairIT5_SW_EEPSW_T10_NSK_16ordered_block_idIjEE.num_agpr, 0
	.set _ZN6thrust23THRUST_200600_302600_NS11hip_rocprim16__set_operations22lookback_set_op_kernelIN7rocprim17ROCPRIM_400000_NS13kernel_configILj256ELj16ELj4294967295EEELb0ENS0_6detail15normal_iteratorINS0_10device_ptrIKiEEEESD_PiSE_lNS9_INSA_IiEEEESE_NS0_4lessIiEENS2_23serial_set_intersectionENS5_6detail19lookback_scan_stateIlLb0ELb1EEEEEvT1_T2_T3_T4_T6_T7_T8_T9_PNS0_4pairIT5_SW_EEPSW_T10_NSK_16ordered_block_idIjEE.numbered_sgpr, 32
	.set _ZN6thrust23THRUST_200600_302600_NS11hip_rocprim16__set_operations22lookback_set_op_kernelIN7rocprim17ROCPRIM_400000_NS13kernel_configILj256ELj16ELj4294967295EEELb0ENS0_6detail15normal_iteratorINS0_10device_ptrIKiEEEESD_PiSE_lNS9_INSA_IiEEEESE_NS0_4lessIiEENS2_23serial_set_intersectionENS5_6detail19lookback_scan_stateIlLb0ELb1EEEEEvT1_T2_T3_T4_T6_T7_T8_T9_PNS0_4pairIT5_SW_EEPSW_T10_NSK_16ordered_block_idIjEE.num_named_barrier, 0
	.set _ZN6thrust23THRUST_200600_302600_NS11hip_rocprim16__set_operations22lookback_set_op_kernelIN7rocprim17ROCPRIM_400000_NS13kernel_configILj256ELj16ELj4294967295EEELb0ENS0_6detail15normal_iteratorINS0_10device_ptrIKiEEEESD_PiSE_lNS9_INSA_IiEEEESE_NS0_4lessIiEENS2_23serial_set_intersectionENS5_6detail19lookback_scan_stateIlLb0ELb1EEEEEvT1_T2_T3_T4_T6_T7_T8_T9_PNS0_4pairIT5_SW_EEPSW_T10_NSK_16ordered_block_idIjEE.private_seg_size, 0
	.set _ZN6thrust23THRUST_200600_302600_NS11hip_rocprim16__set_operations22lookback_set_op_kernelIN7rocprim17ROCPRIM_400000_NS13kernel_configILj256ELj16ELj4294967295EEELb0ENS0_6detail15normal_iteratorINS0_10device_ptrIKiEEEESD_PiSE_lNS9_INSA_IiEEEESE_NS0_4lessIiEENS2_23serial_set_intersectionENS5_6detail19lookback_scan_stateIlLb0ELb1EEEEEvT1_T2_T3_T4_T6_T7_T8_T9_PNS0_4pairIT5_SW_EEPSW_T10_NSK_16ordered_block_idIjEE.uses_vcc, 1
	.set _ZN6thrust23THRUST_200600_302600_NS11hip_rocprim16__set_operations22lookback_set_op_kernelIN7rocprim17ROCPRIM_400000_NS13kernel_configILj256ELj16ELj4294967295EEELb0ENS0_6detail15normal_iteratorINS0_10device_ptrIKiEEEESD_PiSE_lNS9_INSA_IiEEEESE_NS0_4lessIiEENS2_23serial_set_intersectionENS5_6detail19lookback_scan_stateIlLb0ELb1EEEEEvT1_T2_T3_T4_T6_T7_T8_T9_PNS0_4pairIT5_SW_EEPSW_T10_NSK_16ordered_block_idIjEE.uses_flat_scratch, 0
	.set _ZN6thrust23THRUST_200600_302600_NS11hip_rocprim16__set_operations22lookback_set_op_kernelIN7rocprim17ROCPRIM_400000_NS13kernel_configILj256ELj16ELj4294967295EEELb0ENS0_6detail15normal_iteratorINS0_10device_ptrIKiEEEESD_PiSE_lNS9_INSA_IiEEEESE_NS0_4lessIiEENS2_23serial_set_intersectionENS5_6detail19lookback_scan_stateIlLb0ELb1EEEEEvT1_T2_T3_T4_T6_T7_T8_T9_PNS0_4pairIT5_SW_EEPSW_T10_NSK_16ordered_block_idIjEE.has_dyn_sized_stack, 0
	.set _ZN6thrust23THRUST_200600_302600_NS11hip_rocprim16__set_operations22lookback_set_op_kernelIN7rocprim17ROCPRIM_400000_NS13kernel_configILj256ELj16ELj4294967295EEELb0ENS0_6detail15normal_iteratorINS0_10device_ptrIKiEEEESD_PiSE_lNS9_INSA_IiEEEESE_NS0_4lessIiEENS2_23serial_set_intersectionENS5_6detail19lookback_scan_stateIlLb0ELb1EEEEEvT1_T2_T3_T4_T6_T7_T8_T9_PNS0_4pairIT5_SW_EEPSW_T10_NSK_16ordered_block_idIjEE.has_recursion, 0
	.set _ZN6thrust23THRUST_200600_302600_NS11hip_rocprim16__set_operations22lookback_set_op_kernelIN7rocprim17ROCPRIM_400000_NS13kernel_configILj256ELj16ELj4294967295EEELb0ENS0_6detail15normal_iteratorINS0_10device_ptrIKiEEEESD_PiSE_lNS9_INSA_IiEEEESE_NS0_4lessIiEENS2_23serial_set_intersectionENS5_6detail19lookback_scan_stateIlLb0ELb1EEEEEvT1_T2_T3_T4_T6_T7_T8_T9_PNS0_4pairIT5_SW_EEPSW_T10_NSK_16ordered_block_idIjEE.has_indirect_call, 0
	.section	.AMDGPU.csdata,"",@progbits
; Kernel info:
; codeLenInByte = 16856
; TotalNumSgprs: 36
; NumVgprs: 74
; ScratchSize: 0
; MemoryBound: 0
; FloatMode: 240
; IeeeMode: 1
; LDSByteSize: 36868 bytes/workgroup (compile time only)
; SGPRBlocks: 12
; VGPRBlocks: 32
; NumSGPRsForWavesPerEU: 102
; NumVGPRsForWavesPerEU: 129
; Occupancy: 1
; WaveLimiterHint : 1
; COMPUTE_PGM_RSRC2:SCRATCH_EN: 0
; COMPUTE_PGM_RSRC2:USER_SGPR: 6
; COMPUTE_PGM_RSRC2:TRAP_HANDLER: 0
; COMPUTE_PGM_RSRC2:TGID_X_EN: 1
; COMPUTE_PGM_RSRC2:TGID_Y_EN: 0
; COMPUTE_PGM_RSRC2:TGID_Z_EN: 0
; COMPUTE_PGM_RSRC2:TIDIG_COMP_CNT: 2
	.section	.text._ZN6thrust23THRUST_200600_302600_NS11hip_rocprim14__parallel_for6kernelILj256EZNS1_16__set_operations9doit_stepILb0ENS0_6detail15normal_iteratorINS0_10device_ptrIKiEEEESB_PiSC_lNS7_INS8_IiEEEESC_NS0_4lessIiEENS4_21serial_set_differenceEEE10hipError_tPvRmT0_T1_T2_T3_T4_SP_T5_T6_PSP_T7_T8_P12ihipStream_tbEUllE_jLj1EEEvSL_SM_SM_,"axG",@progbits,_ZN6thrust23THRUST_200600_302600_NS11hip_rocprim14__parallel_for6kernelILj256EZNS1_16__set_operations9doit_stepILb0ENS0_6detail15normal_iteratorINS0_10device_ptrIKiEEEESB_PiSC_lNS7_INS8_IiEEEESC_NS0_4lessIiEENS4_21serial_set_differenceEEE10hipError_tPvRmT0_T1_T2_T3_T4_SP_T5_T6_PSP_T7_T8_P12ihipStream_tbEUllE_jLj1EEEvSL_SM_SM_,comdat
	.protected	_ZN6thrust23THRUST_200600_302600_NS11hip_rocprim14__parallel_for6kernelILj256EZNS1_16__set_operations9doit_stepILb0ENS0_6detail15normal_iteratorINS0_10device_ptrIKiEEEESB_PiSC_lNS7_INS8_IiEEEESC_NS0_4lessIiEENS4_21serial_set_differenceEEE10hipError_tPvRmT0_T1_T2_T3_T4_SP_T5_T6_PSP_T7_T8_P12ihipStream_tbEUllE_jLj1EEEvSL_SM_SM_ ; -- Begin function _ZN6thrust23THRUST_200600_302600_NS11hip_rocprim14__parallel_for6kernelILj256EZNS1_16__set_operations9doit_stepILb0ENS0_6detail15normal_iteratorINS0_10device_ptrIKiEEEESB_PiSC_lNS7_INS8_IiEEEESC_NS0_4lessIiEENS4_21serial_set_differenceEEE10hipError_tPvRmT0_T1_T2_T3_T4_SP_T5_T6_PSP_T7_T8_P12ihipStream_tbEUllE_jLj1EEEvSL_SM_SM_
	.globl	_ZN6thrust23THRUST_200600_302600_NS11hip_rocprim14__parallel_for6kernelILj256EZNS1_16__set_operations9doit_stepILb0ENS0_6detail15normal_iteratorINS0_10device_ptrIKiEEEESB_PiSC_lNS7_INS8_IiEEEESC_NS0_4lessIiEENS4_21serial_set_differenceEEE10hipError_tPvRmT0_T1_T2_T3_T4_SP_T5_T6_PSP_T7_T8_P12ihipStream_tbEUllE_jLj1EEEvSL_SM_SM_
	.p2align	8
	.type	_ZN6thrust23THRUST_200600_302600_NS11hip_rocprim14__parallel_for6kernelILj256EZNS1_16__set_operations9doit_stepILb0ENS0_6detail15normal_iteratorINS0_10device_ptrIKiEEEESB_PiSC_lNS7_INS8_IiEEEESC_NS0_4lessIiEENS4_21serial_set_differenceEEE10hipError_tPvRmT0_T1_T2_T3_T4_SP_T5_T6_PSP_T7_T8_P12ihipStream_tbEUllE_jLj1EEEvSL_SM_SM_,@function
_ZN6thrust23THRUST_200600_302600_NS11hip_rocprim14__parallel_for6kernelILj256EZNS1_16__set_operations9doit_stepILb0ENS0_6detail15normal_iteratorINS0_10device_ptrIKiEEEESB_PiSC_lNS7_INS8_IiEEEESC_NS0_4lessIiEENS4_21serial_set_differenceEEE10hipError_tPvRmT0_T1_T2_T3_T4_SP_T5_T6_PSP_T7_T8_P12ihipStream_tbEUllE_jLj1EEEvSL_SM_SM_: ; @_ZN6thrust23THRUST_200600_302600_NS11hip_rocprim14__parallel_for6kernelILj256EZNS1_16__set_operations9doit_stepILb0ENS0_6detail15normal_iteratorINS0_10device_ptrIKiEEEESB_PiSC_lNS7_INS8_IiEEEESC_NS0_4lessIiEENS4_21serial_set_differenceEEE10hipError_tPvRmT0_T1_T2_T3_T4_SP_T5_T6_PSP_T7_T8_P12ihipStream_tbEUllE_jLj1EEEvSL_SM_SM_
; %bb.0:
	s_load_dwordx2 s[0:1], s[4:5], 0x30
	s_load_dwordx2 s[2:3], s[4:5], 0x20
	s_load_dwordx8 s[8:15], s[4:5], 0x0
	s_lshl_b32 s4, s6, 8
	s_waitcnt lgkmcnt(0)
	s_add_i32 s18, s1, s4
	s_sub_i32 s4, s0, s18
	s_cmpk_gt_u32 s4, 0xff
	s_mov_b64 s[0:1], -1
	s_cbranch_scc0 .LBB24_3
; %bb.1:
	s_andn2_b64 vcc, exec, s[0:1]
	s_cbranch_vccz .LBB24_40
.LBB24_2:
	s_endpgm
.LBB24_3:
	v_cmp_gt_u32_e32 vcc, s4, v0
	s_and_saveexec_b64 s[4:5], vcc
	s_cbranch_execz .LBB24_39
; %bb.4:
	v_add_u32_e32 v3, s18, v0
	s_movk_i32 s0, 0xfff
	v_mad_u64_u32 v[1:2], s[0:1], v3, s0, 0
	s_add_u32 s0, s10, s8
	s_addc_u32 s1, s11, s9
	v_cmp_lt_i64_e32 vcc, s[0:1], v[1:2]
	v_mov_b32_e32 v5, s1
	v_cndmask_b32_e32 v6, v2, v5, vcc
	v_mov_b32_e32 v2, s0
	v_cndmask_b32_e32 v5, v1, v2, vcc
	v_mov_b32_e32 v2, s11
	v_subrev_co_u32_e32 v1, vcc, s10, v5
	v_subb_co_u32_e32 v2, vcc, v6, v2, vcc
	v_cmp_lt_i64_e32 vcc, 0, v[1:2]
	v_mov_b32_e32 v7, s9
	v_cndmask_b32_e32 v2, 0, v2, vcc
	v_cndmask_b32_e32 v1, 0, v1, vcc
	v_cmp_lt_i64_e32 vcc, s[8:9], v[5:6]
	v_mov_b32_e32 v4, 0
	v_cndmask_b32_e32 v8, v6, v7, vcc
	v_mov_b32_e32 v7, s8
	v_cndmask_b32_e32 v7, v5, v7, vcc
	v_cmp_lt_i64_e32 vcc, v[1:2], v[7:8]
	s_mov_b64 s[6:7], 0
	s_and_saveexec_b64 s[0:1], vcc
	s_cbranch_execz .LBB24_8
; %bb.5:
	v_lshlrev_b64 v[9:10], 2, v[5:6]
	v_mov_b32_e32 v11, s3
	v_add_co_u32_e32 v9, vcc, s2, v9
	v_addc_co_u32_e32 v10, vcc, v11, v10, vcc
.LBB24_6:                               ; =>This Inner Loop Header: Depth=1
	v_add_co_u32_e32 v11, vcc, v7, v1
	v_addc_co_u32_e32 v12, vcc, v8, v2, vcc
	v_lshrrev_b64 v[11:12], 1, v[11:12]
	v_mov_b32_e32 v16, s15
	v_lshlrev_b64 v[13:14], 2, v[11:12]
	v_add_co_u32_e32 v15, vcc, s14, v13
	v_addc_co_u32_e32 v16, vcc, v16, v14, vcc
	v_xor_b32_e32 v13, -4, v13
	v_xor_b32_e32 v14, -1, v14
	v_add_co_u32_e32 v13, vcc, v9, v13
	v_addc_co_u32_e32 v14, vcc, v10, v14, vcc
	global_load_dword v15, v[15:16], off
	s_nop 0
	global_load_dword v13, v[13:14], off
	v_add_co_u32_e32 v14, vcc, 1, v11
	v_addc_co_u32_e32 v16, vcc, 0, v12, vcc
	s_waitcnt vmcnt(0)
	v_cmp_lt_i32_e32 vcc, v13, v15
	v_cndmask_b32_e32 v8, v8, v12, vcc
	v_cndmask_b32_e32 v7, v7, v11, vcc
	;; [unrolled: 1-line block ×4, first 2 shown]
	v_cmp_ge_i64_e32 vcc, v[1:2], v[7:8]
	s_or_b64 s[6:7], vcc, s[6:7]
	s_andn2_b64 exec, exec, s[6:7]
	s_cbranch_execnz .LBB24_6
; %bb.7:
	s_or_b64 exec, exec, s[6:7]
.LBB24_8:
	s_or_b64 exec, exec, s[0:1]
	v_sub_co_u32_e32 v11, vcc, v5, v1
	v_subb_co_u32_e32 v12, vcc, v6, v2, vcc
	v_cmp_gt_i64_e32 vcc, s[10:11], v[11:12]
	v_mov_b32_e32 v9, 0
	v_mov_b32_e32 v10, 0
	s_and_saveexec_b64 s[6:7], vcc
	s_cbranch_execz .LBB24_38
; %bb.9:
	v_lshlrev_b64 v[7:8], 2, v[11:12]
	v_mov_b32_e32 v10, s3
	v_add_co_u32_e32 v9, vcc, s2, v7
	v_addc_co_u32_e32 v10, vcc, v10, v8, vcc
	global_load_dword v19, v[9:10], off
	v_mov_b32_e32 v7, 0
	v_cmp_lt_i64_e32 vcc, 0, v[1:2]
	v_mov_b32_e32 v13, 0
	v_mov_b32_e32 v8, 0
	;; [unrolled: 1-line block ×3, first 2 shown]
	s_and_saveexec_b64 s[0:1], vcc
	s_cbranch_execnz .LBB24_14
; %bb.10:
	s_or_b64 exec, exec, s[0:1]
	v_cmp_lt_u64_e32 vcc, v[7:8], v[13:14]
	s_and_saveexec_b64 s[0:1], vcc
	s_cbranch_execnz .LBB24_15
.LBB24_11:
	s_or_b64 exec, exec, s[0:1]
	v_cmp_lt_u64_e32 vcc, v[7:8], v[13:14]
	s_and_saveexec_b64 s[0:1], vcc
	s_cbranch_execnz .LBB24_16
.LBB24_12:
	s_or_b64 exec, exec, s[0:1]
	v_cmp_lt_u64_e32 vcc, v[7:8], v[13:14]
	s_and_saveexec_b64 s[0:1], vcc
	s_cbranch_execnz .LBB24_17
.LBB24_13:
	s_or_b64 exec, exec, s[0:1]
	v_cmp_lt_u64_e32 vcc, v[7:8], v[13:14]
	s_and_saveexec_b64 s[0:1], vcc
	s_cbranch_execnz .LBB24_18
	s_branch .LBB24_21
.LBB24_14:
	s_movk_i32 s19, 0x1ff
	v_mad_u64_u32 v[7:8], s[16:17], v1, s19, 0
	v_mov_b32_e32 v15, s15
	v_mad_u64_u32 v[13:14], s[16:17], v2, s19, v[8:9]
	v_mov_b32_e32 v8, v13
	v_lshrrev_b64 v[13:14], 9, v[7:8]
	v_lshlrev_b64 v[7:8], 2, v[13:14]
	v_add_co_u32_e32 v7, vcc, s14, v7
	v_addc_co_u32_e32 v8, vcc, v15, v8, vcc
	global_load_dword v7, v[7:8], off
	v_add_co_u32_e32 v15, vcc, 1, v13
	v_addc_co_u32_e32 v8, vcc, 0, v14, vcc
	s_waitcnt vmcnt(0)
	v_cmp_lt_i32_e32 vcc, v7, v19
	v_cndmask_b32_e32 v8, 0, v8, vcc
	v_cndmask_b32_e32 v7, 0, v15, vcc
	;; [unrolled: 1-line block ×4, first 2 shown]
	s_or_b64 exec, exec, s[0:1]
	v_cmp_lt_u64_e32 vcc, v[7:8], v[13:14]
	s_and_saveexec_b64 s[0:1], vcc
	s_cbranch_execz .LBB24_11
.LBB24_15:
	s_movk_i32 s19, 0x7f
	v_mad_u64_u32 v[15:16], s[16:17], v13, s19, v[7:8]
	v_mov_b32_e32 v20, s15
	v_mad_u64_u32 v[16:17], s[16:17], v14, s19, v[16:17]
	v_lshrrev_b64 v[15:16], 7, v[15:16]
	v_lshlrev_b64 v[17:18], 2, v[15:16]
	v_add_co_u32_e32 v17, vcc, s14, v17
	v_addc_co_u32_e32 v18, vcc, v20, v18, vcc
	global_load_dword v17, v[17:18], off
	v_add_co_u32_e32 v18, vcc, 1, v15
	v_addc_co_u32_e32 v20, vcc, 0, v16, vcc
	s_waitcnt vmcnt(0)
	v_cmp_lt_i32_e32 vcc, v17, v19
	v_cndmask_b32_e32 v8, v8, v20, vcc
	v_cndmask_b32_e32 v7, v7, v18, vcc
	;; [unrolled: 1-line block ×4, first 2 shown]
	s_or_b64 exec, exec, s[0:1]
	v_cmp_lt_u64_e32 vcc, v[7:8], v[13:14]
	s_and_saveexec_b64 s[0:1], vcc
	s_cbranch_execz .LBB24_12
.LBB24_16:
	v_mad_u64_u32 v[15:16], s[16:17], v13, 31, v[7:8]
	v_mov_b32_e32 v20, s15
	v_mad_u64_u32 v[16:17], s[16:17], v14, 31, v[16:17]
	v_lshrrev_b64 v[15:16], 5, v[15:16]
	v_lshlrev_b64 v[17:18], 2, v[15:16]
	v_add_co_u32_e32 v17, vcc, s14, v17
	v_addc_co_u32_e32 v18, vcc, v20, v18, vcc
	global_load_dword v17, v[17:18], off
	v_add_co_u32_e32 v18, vcc, 1, v15
	v_addc_co_u32_e32 v20, vcc, 0, v16, vcc
	s_waitcnt vmcnt(0)
	v_cmp_lt_i32_e32 vcc, v17, v19
	v_cndmask_b32_e32 v8, v8, v20, vcc
	v_cndmask_b32_e32 v7, v7, v18, vcc
	;; [unrolled: 1-line block ×4, first 2 shown]
	s_or_b64 exec, exec, s[0:1]
	v_cmp_lt_u64_e32 vcc, v[7:8], v[13:14]
	s_and_saveexec_b64 s[0:1], vcc
	s_cbranch_execz .LBB24_13
.LBB24_17:
	v_mad_u64_u32 v[15:16], s[16:17], v13, 15, v[7:8]
	v_mov_b32_e32 v20, s15
	v_mad_u64_u32 v[16:17], s[16:17], v14, 15, v[16:17]
	v_lshrrev_b64 v[15:16], 4, v[15:16]
	v_lshlrev_b64 v[17:18], 2, v[15:16]
	v_add_co_u32_e32 v17, vcc, s14, v17
	v_addc_co_u32_e32 v18, vcc, v20, v18, vcc
	global_load_dword v17, v[17:18], off
	v_add_co_u32_e32 v18, vcc, 1, v15
	v_addc_co_u32_e32 v20, vcc, 0, v16, vcc
	s_waitcnt vmcnt(0)
	v_cmp_lt_i32_e32 vcc, v17, v19
	v_cndmask_b32_e32 v8, v8, v20, vcc
	v_cndmask_b32_e32 v7, v7, v18, vcc
	;; [unrolled: 1-line block ×4, first 2 shown]
	s_or_b64 exec, exec, s[0:1]
	v_cmp_lt_u64_e32 vcc, v[7:8], v[13:14]
	s_and_saveexec_b64 s[0:1], vcc
	s_cbranch_execz .LBB24_21
.LBB24_18:
	s_mov_b64 s[16:17], 0
	v_mov_b32_e32 v15, s15
.LBB24_19:                              ; =>This Inner Loop Header: Depth=1
	v_add_co_u32_e32 v16, vcc, v7, v13
	v_addc_co_u32_e32 v17, vcc, v8, v14, vcc
	v_lshrrev_b64 v[16:17], 1, v[16:17]
	v_lshlrev_b64 v[20:21], 2, v[16:17]
	v_add_co_u32_e32 v20, vcc, s14, v20
	v_addc_co_u32_e32 v21, vcc, v15, v21, vcc
	global_load_dword v18, v[20:21], off
	v_add_co_u32_e32 v20, vcc, 1, v16
	v_addc_co_u32_e32 v21, vcc, 0, v17, vcc
	s_waitcnt vmcnt(0)
	v_cmp_lt_i32_e32 vcc, v18, v19
	v_cndmask_b32_e32 v8, v8, v21, vcc
	v_cndmask_b32_e32 v7, v7, v20, vcc
	v_cndmask_b32_e32 v14, v17, v14, vcc
	v_cndmask_b32_e32 v13, v16, v13, vcc
	v_cmp_ge_i64_e32 vcc, v[7:8], v[13:14]
	s_or_b64 s[16:17], vcc, s[16:17]
	s_andn2_b64 exec, exec, s[16:17]
	s_cbranch_execnz .LBB24_19
; %bb.20:
	s_or_b64 exec, exec, s[16:17]
.LBB24_21:
	s_or_b64 exec, exec, s[0:1]
	v_mov_b32_e32 v13, 0
	v_cmp_lt_i64_e32 vcc, 0, v[11:12]
	v_mov_b32_e32 v16, v12
	v_mov_b32_e32 v14, 0
	;; [unrolled: 1-line block ×3, first 2 shown]
	s_and_saveexec_b64 s[0:1], vcc
	s_cbranch_execnz .LBB24_26
; %bb.22:
	s_or_b64 exec, exec, s[0:1]
	v_cmp_lt_i64_e32 vcc, v[13:14], v[15:16]
	s_and_saveexec_b64 s[0:1], vcc
	s_cbranch_execnz .LBB24_27
.LBB24_23:
	s_or_b64 exec, exec, s[0:1]
	v_cmp_lt_i64_e32 vcc, v[13:14], v[15:16]
	s_and_saveexec_b64 s[0:1], vcc
	s_cbranch_execnz .LBB24_28
.LBB24_24:
	s_or_b64 exec, exec, s[0:1]
	v_cmp_lt_i64_e32 vcc, v[13:14], v[15:16]
	s_and_saveexec_b64 s[0:1], vcc
	s_cbranch_execnz .LBB24_29
.LBB24_25:
	s_or_b64 exec, exec, s[0:1]
	v_cmp_lt_i64_e32 vcc, v[13:14], v[15:16]
	s_and_saveexec_b64 s[0:1], vcc
	s_cbranch_execnz .LBB24_30
	s_branch .LBB24_33
.LBB24_26:
	s_movk_i32 s19, 0x1ff
	v_mad_u64_u32 v[13:14], s[16:17], v11, s19, 0
	v_mov_b32_e32 v17, s3
	v_mad_u64_u32 v[14:15], s[16:17], v12, s19, v[14:15]
	v_lshrrev_b64 v[15:16], 9, v[13:14]
	v_lshlrev_b64 v[13:14], 2, v[15:16]
	v_add_co_u32_e32 v13, vcc, s2, v13
	v_addc_co_u32_e32 v14, vcc, v17, v14, vcc
	global_load_dword v13, v[13:14], off
	v_add_co_u32_e32 v17, vcc, 1, v15
	v_addc_co_u32_e32 v14, vcc, 0, v16, vcc
	s_waitcnt vmcnt(0)
	v_cmp_lt_i32_e32 vcc, v13, v19
	v_cndmask_b32_e32 v14, 0, v14, vcc
	v_cndmask_b32_e32 v13, 0, v17, vcc
	v_cndmask_b32_e32 v16, v16, v12, vcc
	v_cndmask_b32_e32 v15, v15, v11, vcc
	s_or_b64 exec, exec, s[0:1]
	v_cmp_lt_i64_e32 vcc, v[13:14], v[15:16]
	s_and_saveexec_b64 s[0:1], vcc
	s_cbranch_execz .LBB24_23
.LBB24_27:
	s_movk_i32 s19, 0x7f
	v_mad_u64_u32 v[17:18], s[16:17], v15, s19, v[13:14]
	v_mov_b32_e32 v22, s3
	s_waitcnt vmcnt(0)
	v_mad_u64_u32 v[20:21], s[16:17], v16, s19, v[18:19]
	v_mov_b32_e32 v18, v20
	v_lshrrev_b64 v[17:18], 7, v[17:18]
	v_lshlrev_b64 v[20:21], 2, v[17:18]
	v_add_co_u32_e32 v20, vcc, s2, v20
	v_addc_co_u32_e32 v21, vcc, v22, v21, vcc
	global_load_dword v20, v[20:21], off
	v_add_co_u32_e32 v21, vcc, 1, v17
	v_addc_co_u32_e32 v22, vcc, 0, v18, vcc
	s_waitcnt vmcnt(0)
	v_cmp_lt_i32_e32 vcc, v20, v19
	v_cndmask_b32_e32 v14, v14, v22, vcc
	v_cndmask_b32_e32 v13, v13, v21, vcc
	;; [unrolled: 1-line block ×4, first 2 shown]
	s_or_b64 exec, exec, s[0:1]
	v_cmp_lt_i64_e32 vcc, v[13:14], v[15:16]
	s_and_saveexec_b64 s[0:1], vcc
	s_cbranch_execz .LBB24_24
.LBB24_28:
	v_mad_u64_u32 v[17:18], s[16:17], v15, 31, v[13:14]
	v_mov_b32_e32 v22, s3
	s_waitcnt vmcnt(0)
	v_mad_u64_u32 v[20:21], s[16:17], v16, 31, v[18:19]
	v_mov_b32_e32 v18, v20
	v_lshrrev_b64 v[17:18], 5, v[17:18]
	v_lshlrev_b64 v[20:21], 2, v[17:18]
	v_add_co_u32_e32 v20, vcc, s2, v20
	v_addc_co_u32_e32 v21, vcc, v22, v21, vcc
	global_load_dword v20, v[20:21], off
	v_add_co_u32_e32 v21, vcc, 1, v17
	v_addc_co_u32_e32 v22, vcc, 0, v18, vcc
	s_waitcnt vmcnt(0)
	v_cmp_lt_i32_e32 vcc, v20, v19
	v_cndmask_b32_e32 v14, v14, v22, vcc
	v_cndmask_b32_e32 v13, v13, v21, vcc
	v_cndmask_b32_e32 v16, v18, v16, vcc
	v_cndmask_b32_e32 v15, v17, v15, vcc
	s_or_b64 exec, exec, s[0:1]
	v_cmp_lt_i64_e32 vcc, v[13:14], v[15:16]
	s_and_saveexec_b64 s[0:1], vcc
	s_cbranch_execz .LBB24_25
.LBB24_29:
	v_mad_u64_u32 v[17:18], s[16:17], v15, 15, v[13:14]
	v_mov_b32_e32 v22, s3
	s_waitcnt vmcnt(0)
	v_mad_u64_u32 v[20:21], s[16:17], v16, 15, v[18:19]
	v_mov_b32_e32 v18, v20
	v_lshrrev_b64 v[17:18], 4, v[17:18]
	v_lshlrev_b64 v[20:21], 2, v[17:18]
	v_add_co_u32_e32 v20, vcc, s2, v20
	v_addc_co_u32_e32 v21, vcc, v22, v21, vcc
	global_load_dword v20, v[20:21], off
	v_add_co_u32_e32 v21, vcc, 1, v17
	v_addc_co_u32_e32 v22, vcc, 0, v18, vcc
	s_waitcnt vmcnt(0)
	v_cmp_lt_i32_e32 vcc, v20, v19
	v_cndmask_b32_e32 v14, v14, v22, vcc
	v_cndmask_b32_e32 v13, v13, v21, vcc
	v_cndmask_b32_e32 v16, v18, v16, vcc
	v_cndmask_b32_e32 v15, v17, v15, vcc
	s_or_b64 exec, exec, s[0:1]
	v_cmp_lt_i64_e32 vcc, v[13:14], v[15:16]
	s_and_saveexec_b64 s[0:1], vcc
	s_cbranch_execz .LBB24_33
.LBB24_30:
	s_mov_b64 s[16:17], 0
	v_mov_b32_e32 v17, s3
.LBB24_31:                              ; =>This Inner Loop Header: Depth=1
	v_add_co_u32_e32 v20, vcc, v13, v15
	v_addc_co_u32_e32 v21, vcc, v14, v16, vcc
	v_lshrrev_b64 v[20:21], 1, v[20:21]
	v_lshlrev_b64 v[22:23], 2, v[20:21]
	v_add_co_u32_e32 v22, vcc, s2, v22
	v_addc_co_u32_e32 v23, vcc, v17, v23, vcc
	global_load_dword v18, v[22:23], off
	v_add_co_u32_e32 v22, vcc, 1, v20
	v_addc_co_u32_e32 v23, vcc, 0, v21, vcc
	s_waitcnt vmcnt(0)
	v_cmp_lt_i32_e32 vcc, v18, v19
	v_cndmask_b32_e32 v14, v14, v23, vcc
	v_cndmask_b32_e32 v13, v13, v22, vcc
	v_cndmask_b32_e32 v16, v21, v16, vcc
	v_cndmask_b32_e32 v15, v20, v15, vcc
	v_cmp_ge_i64_e32 vcc, v[13:14], v[15:16]
	s_or_b64 s[16:17], vcc, s[16:17]
	s_andn2_b64 exec, exec, s[16:17]
	s_cbranch_execnz .LBB24_31
; %bb.32:
	s_or_b64 exec, exec, s[16:17]
.LBB24_33:
	s_or_b64 exec, exec, s[0:1]
	v_sub_co_u32_e32 v1, vcc, v1, v7
	v_subb_co_u32_e32 v2, vcc, v2, v8, vcc
	v_sub_co_u32_e32 v17, vcc, v11, v13
	v_subb_co_u32_e32 v18, vcc, v12, v14, vcc
	v_add_co_u32_e32 v15, vcc, v17, v1
	v_addc_co_u32_e32 v16, vcc, v18, v2, vcc
	v_ashrrev_i64 v[1:2], 1, v[15:16]
	v_mov_b32_e32 v20, s11
	v_cmp_gt_i64_e32 vcc, v[1:2], v[17:18]
	v_cndmask_b32_e32 v1, v17, v1, vcc
	v_cndmask_b32_e32 v2, v18, v2, vcc
	v_add_co_u32_e32 v13, vcc, v13, v1
	v_addc_co_u32_e32 v14, vcc, v14, v2, vcc
	v_add_co_u32_e32 v13, vcc, 1, v13
	v_addc_co_u32_e32 v14, vcc, 0, v14, vcc
	v_cmp_gt_i64_e32 vcc, s[10:11], v[13:14]
	v_cndmask_b32_e32 v14, v20, v14, vcc
	v_mov_b32_e32 v20, s10
	v_cndmask_b32_e32 v13, v20, v13, vcc
	v_sub_co_u32_e32 v13, vcc, v13, v11
	v_subb_co_u32_e32 v14, vcc, v14, v12, vcc
	v_mov_b32_e32 v11, 0
	v_cmp_lt_i64_e32 vcc, 0, v[13:14]
	v_mov_b32_e32 v12, 0
	s_and_saveexec_b64 s[0:1], vcc
	s_cbranch_execz .LBB24_37
; %bb.34:
	v_mov_b32_e32 v11, 0
	v_mov_b32_e32 v12, 0
	s_mov_b64 s[16:17], 0
.LBB24_35:                              ; =>This Inner Loop Header: Depth=1
	v_add_co_u32_e32 v20, vcc, v11, v13
	v_addc_co_u32_e32 v21, vcc, v12, v14, vcc
	v_lshrrev_b64 v[20:21], 1, v[20:21]
	v_lshlrev_b64 v[22:23], 2, v[20:21]
	v_add_co_u32_e32 v22, vcc, v9, v22
	v_addc_co_u32_e32 v23, vcc, v10, v23, vcc
	global_load_dword v22, v[22:23], off
	v_add_co_u32_e32 v23, vcc, 1, v20
	v_addc_co_u32_e32 v24, vcc, 0, v21, vcc
	s_waitcnt vmcnt(0)
	v_cmp_lt_i32_e32 vcc, v19, v22
	v_cndmask_b32_e32 v12, v24, v12, vcc
	v_cndmask_b32_e32 v11, v23, v11, vcc
	;; [unrolled: 1-line block ×4, first 2 shown]
	v_cmp_ge_i64_e32 vcc, v[11:12], v[13:14]
	s_or_b64 s[16:17], vcc, s[16:17]
	s_andn2_b64 exec, exec, s[16:17]
	s_cbranch_execnz .LBB24_35
; %bb.36:
	s_or_b64 exec, exec, s[16:17]
	v_ashrrev_i32_e32 v12, 31, v11
.LBB24_37:
	s_or_b64 exec, exec, s[0:1]
	v_add_co_u32_e32 v9, vcc, v11, v17
	v_addc_co_u32_e32 v10, vcc, v12, v18, vcc
	v_cmp_lt_i64_e32 vcc, v[9:10], v[1:2]
	v_cmp_lt_i64_e64 s[0:1], v[1:2], v[9:10]
	v_cndmask_b32_e32 v13, v1, v9, vcc
	v_cndmask_b32_e32 v14, v2, v10, vcc
	v_sub_co_u32_e32 v11, vcc, v15, v13
	v_subb_co_u32_e32 v12, vcc, v16, v14, vcc
	v_add_co_u32_e32 v13, vcc, 1, v13
	v_addc_co_u32_e32 v14, vcc, 0, v14, vcc
	v_cmp_eq_u64_e32 vcc, v[11:12], v[13:14]
	s_and_b64 s[0:1], vcc, s[0:1]
	v_cndmask_b32_e64 v9, 0, 1, s[0:1]
	s_mov_b32 s0, 0
	v_add_co_u32_e32 v1, vcc, v11, v7
	v_mov_b32_e32 v10, s0
	v_addc_co_u32_e32 v2, vcc, v12, v8, vcc
.LBB24_38:
	s_or_b64 exec, exec, s[6:7]
	v_lshlrev_b64 v[3:4], 4, v[3:4]
	v_mov_b32_e32 v8, s13
	v_add_co_u32_e32 v7, vcc, s12, v3
	v_addc_co_u32_e32 v8, vcc, v8, v4, vcc
	v_add_co_u32_e32 v3, vcc, v9, v5
	v_addc_co_u32_e32 v4, vcc, v10, v6, vcc
	v_sub_co_u32_e32 v3, vcc, v3, v1
	v_subb_co_u32_e32 v4, vcc, v4, v2, vcc
	global_store_dwordx4 v[7:8], v[1:4], off
.LBB24_39:
	s_or_b64 exec, exec, s[4:5]
	s_cbranch_execnz .LBB24_2
.LBB24_40:
	v_add_u32_e32 v2, s18, v0
	s_movk_i32 s0, 0xfff
	v_mad_u64_u32 v[0:1], s[0:1], v2, s0, 0
	s_add_u32 s0, s10, s8
	s_addc_u32 s1, s11, s9
	v_cmp_lt_i64_e32 vcc, s[0:1], v[0:1]
	v_mov_b32_e32 v4, s1
	v_cndmask_b32_e32 v5, v1, v4, vcc
	v_mov_b32_e32 v1, s0
	v_cndmask_b32_e32 v4, v0, v1, vcc
	v_mov_b32_e32 v1, s11
	v_subrev_co_u32_e32 v0, vcc, s10, v4
	v_subb_co_u32_e32 v1, vcc, v5, v1, vcc
	v_cmp_lt_i64_e32 vcc, 0, v[0:1]
	v_mov_b32_e32 v6, s9
	v_cndmask_b32_e32 v1, 0, v1, vcc
	v_cndmask_b32_e32 v0, 0, v0, vcc
	v_cmp_lt_i64_e32 vcc, s[8:9], v[4:5]
	v_mov_b32_e32 v3, 0
	v_cndmask_b32_e32 v7, v5, v6, vcc
	v_mov_b32_e32 v6, s8
	v_cndmask_b32_e32 v6, v4, v6, vcc
	v_cmp_lt_i64_e32 vcc, v[0:1], v[6:7]
	s_mov_b64 s[4:5], 0
	s_and_saveexec_b64 s[0:1], vcc
	s_cbranch_execz .LBB24_44
; %bb.41:
	v_lshlrev_b64 v[8:9], 2, v[4:5]
	v_mov_b32_e32 v10, s3
	v_add_co_u32_e32 v8, vcc, s2, v8
	v_addc_co_u32_e32 v9, vcc, v10, v9, vcc
.LBB24_42:                              ; =>This Inner Loop Header: Depth=1
	v_add_co_u32_e32 v10, vcc, v6, v0
	v_addc_co_u32_e32 v11, vcc, v7, v1, vcc
	v_lshrrev_b64 v[10:11], 1, v[10:11]
	v_mov_b32_e32 v15, s15
	v_lshlrev_b64 v[12:13], 2, v[10:11]
	v_add_co_u32_e32 v14, vcc, s14, v12
	v_addc_co_u32_e32 v15, vcc, v15, v13, vcc
	v_xor_b32_e32 v12, -4, v12
	v_xor_b32_e32 v13, -1, v13
	v_add_co_u32_e32 v12, vcc, v8, v12
	v_addc_co_u32_e32 v13, vcc, v9, v13, vcc
	global_load_dword v14, v[14:15], off
	s_nop 0
	global_load_dword v12, v[12:13], off
	v_add_co_u32_e32 v13, vcc, 1, v10
	v_addc_co_u32_e32 v15, vcc, 0, v11, vcc
	s_waitcnt vmcnt(0)
	v_cmp_lt_i32_e32 vcc, v12, v14
	v_cndmask_b32_e32 v7, v7, v11, vcc
	v_cndmask_b32_e32 v6, v6, v10, vcc
	;; [unrolled: 1-line block ×4, first 2 shown]
	v_cmp_ge_i64_e32 vcc, v[0:1], v[6:7]
	s_or_b64 s[4:5], vcc, s[4:5]
	s_andn2_b64 exec, exec, s[4:5]
	s_cbranch_execnz .LBB24_42
; %bb.43:
	s_or_b64 exec, exec, s[4:5]
.LBB24_44:
	s_or_b64 exec, exec, s[0:1]
	v_sub_co_u32_e32 v10, vcc, v4, v0
	v_subb_co_u32_e32 v11, vcc, v5, v1, vcc
	v_cmp_gt_i64_e32 vcc, s[10:11], v[10:11]
	v_mov_b32_e32 v8, 0
	v_mov_b32_e32 v9, 0
	s_and_saveexec_b64 s[4:5], vcc
	s_cbranch_execz .LBB24_74
; %bb.45:
	v_lshlrev_b64 v[6:7], 2, v[10:11]
	v_mov_b32_e32 v9, s3
	v_add_co_u32_e32 v8, vcc, s2, v6
	v_addc_co_u32_e32 v9, vcc, v9, v7, vcc
	global_load_dword v18, v[8:9], off
	v_mov_b32_e32 v6, 0
	v_cmp_lt_i64_e32 vcc, 0, v[0:1]
	v_mov_b32_e32 v12, 0
	v_mov_b32_e32 v7, 0
	;; [unrolled: 1-line block ×3, first 2 shown]
	s_and_saveexec_b64 s[0:1], vcc
	s_cbranch_execnz .LBB24_50
; %bb.46:
	s_or_b64 exec, exec, s[0:1]
	v_cmp_lt_u64_e32 vcc, v[6:7], v[12:13]
	s_and_saveexec_b64 s[0:1], vcc
	s_cbranch_execnz .LBB24_51
.LBB24_47:
	s_or_b64 exec, exec, s[0:1]
	v_cmp_lt_u64_e32 vcc, v[6:7], v[12:13]
	s_and_saveexec_b64 s[0:1], vcc
	s_cbranch_execnz .LBB24_52
.LBB24_48:
	s_or_b64 exec, exec, s[0:1]
	v_cmp_lt_u64_e32 vcc, v[6:7], v[12:13]
	s_and_saveexec_b64 s[0:1], vcc
	s_cbranch_execnz .LBB24_53
.LBB24_49:
	s_or_b64 exec, exec, s[0:1]
	v_cmp_lt_u64_e32 vcc, v[6:7], v[12:13]
	s_and_saveexec_b64 s[0:1], vcc
	s_cbranch_execnz .LBB24_54
	s_branch .LBB24_57
.LBB24_50:
	s_movk_i32 s8, 0x1ff
	v_mad_u64_u32 v[6:7], s[6:7], v0, s8, 0
	v_mov_b32_e32 v14, s15
	v_mad_u64_u32 v[12:13], s[6:7], v1, s8, v[7:8]
	v_mov_b32_e32 v7, v12
	v_lshrrev_b64 v[12:13], 9, v[6:7]
	v_lshlrev_b64 v[6:7], 2, v[12:13]
	v_add_co_u32_e32 v6, vcc, s14, v6
	v_addc_co_u32_e32 v7, vcc, v14, v7, vcc
	global_load_dword v6, v[6:7], off
	v_add_co_u32_e32 v14, vcc, 1, v12
	v_addc_co_u32_e32 v7, vcc, 0, v13, vcc
	s_waitcnt vmcnt(0)
	v_cmp_lt_i32_e32 vcc, v6, v18
	v_cndmask_b32_e32 v7, 0, v7, vcc
	v_cndmask_b32_e32 v6, 0, v14, vcc
	;; [unrolled: 1-line block ×4, first 2 shown]
	s_or_b64 exec, exec, s[0:1]
	v_cmp_lt_u64_e32 vcc, v[6:7], v[12:13]
	s_and_saveexec_b64 s[0:1], vcc
	s_cbranch_execz .LBB24_47
.LBB24_51:
	s_movk_i32 s8, 0x7f
	v_mad_u64_u32 v[14:15], s[6:7], v12, s8, v[6:7]
	s_waitcnt vmcnt(2)
	v_mov_b32_e32 v19, s15
	v_mad_u64_u32 v[15:16], s[6:7], v13, s8, v[15:16]
	v_lshrrev_b64 v[14:15], 7, v[14:15]
	v_lshlrev_b64 v[16:17], 2, v[14:15]
	v_add_co_u32_e32 v16, vcc, s14, v16
	v_addc_co_u32_e32 v17, vcc, v19, v17, vcc
	global_load_dword v16, v[16:17], off
	v_add_co_u32_e32 v17, vcc, 1, v14
	v_addc_co_u32_e32 v19, vcc, 0, v15, vcc
	s_waitcnt vmcnt(0)
	v_cmp_lt_i32_e32 vcc, v16, v18
	v_cndmask_b32_e32 v7, v7, v19, vcc
	v_cndmask_b32_e32 v6, v6, v17, vcc
	;; [unrolled: 1-line block ×4, first 2 shown]
	s_or_b64 exec, exec, s[0:1]
	v_cmp_lt_u64_e32 vcc, v[6:7], v[12:13]
	s_and_saveexec_b64 s[0:1], vcc
	s_cbranch_execz .LBB24_48
.LBB24_52:
	v_mad_u64_u32 v[14:15], s[6:7], v12, 31, v[6:7]
	s_waitcnt vmcnt(2)
	v_mov_b32_e32 v19, s15
	v_mad_u64_u32 v[15:16], s[6:7], v13, 31, v[15:16]
	v_lshrrev_b64 v[14:15], 5, v[14:15]
	v_lshlrev_b64 v[16:17], 2, v[14:15]
	v_add_co_u32_e32 v16, vcc, s14, v16
	v_addc_co_u32_e32 v17, vcc, v19, v17, vcc
	global_load_dword v16, v[16:17], off
	v_add_co_u32_e32 v17, vcc, 1, v14
	v_addc_co_u32_e32 v19, vcc, 0, v15, vcc
	s_waitcnt vmcnt(0)
	v_cmp_lt_i32_e32 vcc, v16, v18
	v_cndmask_b32_e32 v7, v7, v19, vcc
	v_cndmask_b32_e32 v6, v6, v17, vcc
	;; [unrolled: 1-line block ×4, first 2 shown]
	s_or_b64 exec, exec, s[0:1]
	v_cmp_lt_u64_e32 vcc, v[6:7], v[12:13]
	s_and_saveexec_b64 s[0:1], vcc
	s_cbranch_execz .LBB24_49
.LBB24_53:
	v_mad_u64_u32 v[14:15], s[6:7], v12, 15, v[6:7]
	s_waitcnt vmcnt(2)
	v_mov_b32_e32 v19, s15
	v_mad_u64_u32 v[15:16], s[6:7], v13, 15, v[15:16]
	v_lshrrev_b64 v[14:15], 4, v[14:15]
	v_lshlrev_b64 v[16:17], 2, v[14:15]
	v_add_co_u32_e32 v16, vcc, s14, v16
	v_addc_co_u32_e32 v17, vcc, v19, v17, vcc
	global_load_dword v16, v[16:17], off
	v_add_co_u32_e32 v17, vcc, 1, v14
	v_addc_co_u32_e32 v19, vcc, 0, v15, vcc
	s_waitcnt vmcnt(0)
	v_cmp_lt_i32_e32 vcc, v16, v18
	v_cndmask_b32_e32 v7, v7, v19, vcc
	v_cndmask_b32_e32 v6, v6, v17, vcc
	;; [unrolled: 1-line block ×4, first 2 shown]
	s_or_b64 exec, exec, s[0:1]
	v_cmp_lt_u64_e32 vcc, v[6:7], v[12:13]
	s_and_saveexec_b64 s[0:1], vcc
	s_cbranch_execz .LBB24_57
.LBB24_54:
	s_mov_b64 s[6:7], 0
	v_mov_b32_e32 v14, s15
.LBB24_55:                              ; =>This Inner Loop Header: Depth=1
	v_add_co_u32_e32 v15, vcc, v6, v12
	v_addc_co_u32_e32 v16, vcc, v7, v13, vcc
	v_lshrrev_b64 v[15:16], 1, v[15:16]
	s_waitcnt vmcnt(2)
	v_lshlrev_b64 v[19:20], 2, v[15:16]
	v_add_co_u32_e32 v19, vcc, s14, v19
	v_addc_co_u32_e32 v20, vcc, v14, v20, vcc
	global_load_dword v17, v[19:20], off
	v_add_co_u32_e32 v19, vcc, 1, v15
	v_addc_co_u32_e32 v20, vcc, 0, v16, vcc
	s_waitcnt vmcnt(0)
	v_cmp_lt_i32_e32 vcc, v17, v18
	v_cndmask_b32_e32 v7, v7, v20, vcc
	v_cndmask_b32_e32 v6, v6, v19, vcc
	;; [unrolled: 1-line block ×4, first 2 shown]
	v_cmp_ge_i64_e32 vcc, v[6:7], v[12:13]
	s_or_b64 s[6:7], vcc, s[6:7]
	s_andn2_b64 exec, exec, s[6:7]
	s_cbranch_execnz .LBB24_55
; %bb.56:
	s_or_b64 exec, exec, s[6:7]
.LBB24_57:
	s_or_b64 exec, exec, s[0:1]
	v_mov_b32_e32 v12, 0
	v_cmp_lt_i64_e32 vcc, 0, v[10:11]
	v_mov_b32_e32 v15, v11
	v_mov_b32_e32 v13, 0
	;; [unrolled: 1-line block ×3, first 2 shown]
	s_and_saveexec_b64 s[0:1], vcc
	s_cbranch_execnz .LBB24_62
; %bb.58:
	s_or_b64 exec, exec, s[0:1]
	v_cmp_lt_i64_e32 vcc, v[12:13], v[14:15]
	s_and_saveexec_b64 s[0:1], vcc
	s_cbranch_execnz .LBB24_63
.LBB24_59:
	s_or_b64 exec, exec, s[0:1]
	v_cmp_lt_i64_e32 vcc, v[12:13], v[14:15]
	s_and_saveexec_b64 s[0:1], vcc
	s_cbranch_execnz .LBB24_64
.LBB24_60:
	s_or_b64 exec, exec, s[0:1]
	v_cmp_lt_i64_e32 vcc, v[12:13], v[14:15]
	s_and_saveexec_b64 s[0:1], vcc
	s_cbranch_execnz .LBB24_65
.LBB24_61:
	s_or_b64 exec, exec, s[0:1]
	v_cmp_lt_i64_e32 vcc, v[12:13], v[14:15]
	s_and_saveexec_b64 s[0:1], vcc
	s_cbranch_execnz .LBB24_66
	s_branch .LBB24_69
.LBB24_62:
	s_movk_i32 s8, 0x1ff
	v_mad_u64_u32 v[12:13], s[6:7], v10, s8, 0
	v_mov_b32_e32 v16, s3
	v_mad_u64_u32 v[13:14], s[6:7], v11, s8, v[13:14]
	v_lshrrev_b64 v[14:15], 9, v[12:13]
	v_lshlrev_b64 v[12:13], 2, v[14:15]
	v_add_co_u32_e32 v12, vcc, s2, v12
	v_addc_co_u32_e32 v13, vcc, v16, v13, vcc
	global_load_dword v12, v[12:13], off
	v_add_co_u32_e32 v16, vcc, 1, v14
	v_addc_co_u32_e32 v13, vcc, 0, v15, vcc
	s_waitcnt vmcnt(0)
	v_cmp_lt_i32_e32 vcc, v12, v18
	v_cndmask_b32_e32 v13, 0, v13, vcc
	v_cndmask_b32_e32 v12, 0, v16, vcc
	;; [unrolled: 1-line block ×4, first 2 shown]
	s_or_b64 exec, exec, s[0:1]
	v_cmp_lt_i64_e32 vcc, v[12:13], v[14:15]
	s_and_saveexec_b64 s[0:1], vcc
	s_cbranch_execz .LBB24_59
.LBB24_63:
	s_movk_i32 s8, 0x7f
	v_mad_u64_u32 v[16:17], s[6:7], v14, s8, v[12:13]
	v_mov_b32_e32 v21, s3
	s_waitcnt vmcnt(0)
	v_mad_u64_u32 v[19:20], s[6:7], v15, s8, v[17:18]
	v_mov_b32_e32 v17, v19
	v_lshrrev_b64 v[16:17], 7, v[16:17]
	v_lshlrev_b64 v[19:20], 2, v[16:17]
	v_add_co_u32_e32 v19, vcc, s2, v19
	v_addc_co_u32_e32 v20, vcc, v21, v20, vcc
	global_load_dword v19, v[19:20], off
	v_add_co_u32_e32 v20, vcc, 1, v16
	v_addc_co_u32_e32 v21, vcc, 0, v17, vcc
	s_waitcnt vmcnt(0)
	v_cmp_lt_i32_e32 vcc, v19, v18
	v_cndmask_b32_e32 v13, v13, v21, vcc
	v_cndmask_b32_e32 v12, v12, v20, vcc
	;; [unrolled: 1-line block ×4, first 2 shown]
	s_or_b64 exec, exec, s[0:1]
	v_cmp_lt_i64_e32 vcc, v[12:13], v[14:15]
	s_and_saveexec_b64 s[0:1], vcc
	s_cbranch_execz .LBB24_60
.LBB24_64:
	v_mad_u64_u32 v[16:17], s[6:7], v14, 31, v[12:13]
	v_mov_b32_e32 v21, s3
	s_waitcnt vmcnt(0)
	v_mad_u64_u32 v[19:20], s[6:7], v15, 31, v[17:18]
	v_mov_b32_e32 v17, v19
	v_lshrrev_b64 v[16:17], 5, v[16:17]
	v_lshlrev_b64 v[19:20], 2, v[16:17]
	v_add_co_u32_e32 v19, vcc, s2, v19
	v_addc_co_u32_e32 v20, vcc, v21, v20, vcc
	global_load_dword v19, v[19:20], off
	v_add_co_u32_e32 v20, vcc, 1, v16
	v_addc_co_u32_e32 v21, vcc, 0, v17, vcc
	s_waitcnt vmcnt(0)
	v_cmp_lt_i32_e32 vcc, v19, v18
	v_cndmask_b32_e32 v13, v13, v21, vcc
	v_cndmask_b32_e32 v12, v12, v20, vcc
	;; [unrolled: 1-line block ×4, first 2 shown]
	s_or_b64 exec, exec, s[0:1]
	v_cmp_lt_i64_e32 vcc, v[12:13], v[14:15]
	s_and_saveexec_b64 s[0:1], vcc
	s_cbranch_execz .LBB24_61
.LBB24_65:
	v_mad_u64_u32 v[16:17], s[6:7], v14, 15, v[12:13]
	v_mov_b32_e32 v21, s3
	s_waitcnt vmcnt(0)
	v_mad_u64_u32 v[19:20], s[6:7], v15, 15, v[17:18]
	v_mov_b32_e32 v17, v19
	v_lshrrev_b64 v[16:17], 4, v[16:17]
	v_lshlrev_b64 v[19:20], 2, v[16:17]
	v_add_co_u32_e32 v19, vcc, s2, v19
	v_addc_co_u32_e32 v20, vcc, v21, v20, vcc
	global_load_dword v19, v[19:20], off
	v_add_co_u32_e32 v20, vcc, 1, v16
	v_addc_co_u32_e32 v21, vcc, 0, v17, vcc
	s_waitcnt vmcnt(0)
	v_cmp_lt_i32_e32 vcc, v19, v18
	v_cndmask_b32_e32 v13, v13, v21, vcc
	v_cndmask_b32_e32 v12, v12, v20, vcc
	;; [unrolled: 1-line block ×4, first 2 shown]
	s_or_b64 exec, exec, s[0:1]
	v_cmp_lt_i64_e32 vcc, v[12:13], v[14:15]
	s_and_saveexec_b64 s[0:1], vcc
	s_cbranch_execz .LBB24_69
.LBB24_66:
	s_mov_b64 s[6:7], 0
	v_mov_b32_e32 v16, s3
.LBB24_67:                              ; =>This Inner Loop Header: Depth=1
	s_waitcnt vmcnt(2)
	v_add_co_u32_e32 v19, vcc, v12, v14
	v_addc_co_u32_e32 v20, vcc, v13, v15, vcc
	v_lshrrev_b64 v[19:20], 1, v[19:20]
	v_lshlrev_b64 v[21:22], 2, v[19:20]
	v_add_co_u32_e32 v21, vcc, s2, v21
	v_addc_co_u32_e32 v22, vcc, v16, v22, vcc
	global_load_dword v17, v[21:22], off
	v_add_co_u32_e32 v21, vcc, 1, v19
	v_addc_co_u32_e32 v22, vcc, 0, v20, vcc
	s_waitcnt vmcnt(0)
	v_cmp_lt_i32_e32 vcc, v17, v18
	v_cndmask_b32_e32 v13, v13, v22, vcc
	v_cndmask_b32_e32 v12, v12, v21, vcc
	;; [unrolled: 1-line block ×4, first 2 shown]
	v_cmp_ge_i64_e32 vcc, v[12:13], v[14:15]
	s_or_b64 s[6:7], vcc, s[6:7]
	s_andn2_b64 exec, exec, s[6:7]
	s_cbranch_execnz .LBB24_67
; %bb.68:
	s_or_b64 exec, exec, s[6:7]
.LBB24_69:
	s_or_b64 exec, exec, s[0:1]
	v_sub_co_u32_e32 v0, vcc, v0, v6
	v_subb_co_u32_e32 v1, vcc, v1, v7, vcc
	v_sub_co_u32_e32 v16, vcc, v10, v12
	v_subb_co_u32_e32 v17, vcc, v11, v13, vcc
	v_add_co_u32_e32 v14, vcc, v16, v0
	v_addc_co_u32_e32 v15, vcc, v17, v1, vcc
	v_ashrrev_i64 v[0:1], 1, v[14:15]
	s_waitcnt vmcnt(2)
	v_mov_b32_e32 v19, s11
	v_cmp_gt_i64_e32 vcc, v[0:1], v[16:17]
	v_cndmask_b32_e32 v0, v16, v0, vcc
	v_cndmask_b32_e32 v1, v17, v1, vcc
	v_add_co_u32_e32 v12, vcc, v12, v0
	v_addc_co_u32_e32 v13, vcc, v13, v1, vcc
	v_add_co_u32_e32 v12, vcc, 1, v12
	v_addc_co_u32_e32 v13, vcc, 0, v13, vcc
	v_cmp_gt_i64_e32 vcc, s[10:11], v[12:13]
	v_cndmask_b32_e32 v13, v19, v13, vcc
	v_mov_b32_e32 v19, s10
	v_cndmask_b32_e32 v12, v19, v12, vcc
	v_sub_co_u32_e32 v12, vcc, v12, v10
	v_subb_co_u32_e32 v13, vcc, v13, v11, vcc
	v_mov_b32_e32 v10, 0
	v_cmp_lt_i64_e32 vcc, 0, v[12:13]
	v_mov_b32_e32 v11, 0
	s_and_saveexec_b64 s[0:1], vcc
	s_cbranch_execz .LBB24_73
; %bb.70:
	v_mov_b32_e32 v10, 0
	v_mov_b32_e32 v11, 0
	s_mov_b64 s[2:3], 0
.LBB24_71:                              ; =>This Inner Loop Header: Depth=1
	v_add_co_u32_e32 v19, vcc, v10, v12
	v_addc_co_u32_e32 v20, vcc, v11, v13, vcc
	v_lshrrev_b64 v[19:20], 1, v[19:20]
	v_lshlrev_b64 v[21:22], 2, v[19:20]
	v_add_co_u32_e32 v21, vcc, v8, v21
	v_addc_co_u32_e32 v22, vcc, v9, v22, vcc
	global_load_dword v21, v[21:22], off
	v_add_co_u32_e32 v22, vcc, 1, v19
	v_addc_co_u32_e32 v23, vcc, 0, v20, vcc
	s_waitcnt vmcnt(0)
	v_cmp_lt_i32_e32 vcc, v18, v21
	v_cndmask_b32_e32 v11, v23, v11, vcc
	v_cndmask_b32_e32 v10, v22, v10, vcc
	;; [unrolled: 1-line block ×4, first 2 shown]
	v_cmp_ge_i64_e32 vcc, v[10:11], v[12:13]
	s_or_b64 s[2:3], vcc, s[2:3]
	s_andn2_b64 exec, exec, s[2:3]
	s_cbranch_execnz .LBB24_71
; %bb.72:
	s_or_b64 exec, exec, s[2:3]
	v_ashrrev_i32_e32 v11, 31, v10
.LBB24_73:
	s_or_b64 exec, exec, s[0:1]
	v_add_co_u32_e32 v8, vcc, v10, v16
	v_addc_co_u32_e32 v9, vcc, v11, v17, vcc
	v_cmp_lt_i64_e32 vcc, v[8:9], v[0:1]
	v_cmp_lt_i64_e64 s[0:1], v[0:1], v[8:9]
	v_cndmask_b32_e32 v12, v0, v8, vcc
	v_cndmask_b32_e32 v13, v1, v9, vcc
	v_sub_co_u32_e32 v10, vcc, v14, v12
	v_subb_co_u32_e32 v11, vcc, v15, v13, vcc
	v_add_co_u32_e32 v12, vcc, 1, v12
	v_addc_co_u32_e32 v13, vcc, 0, v13, vcc
	v_cmp_eq_u64_e32 vcc, v[10:11], v[12:13]
	s_and_b64 s[0:1], vcc, s[0:1]
	v_cndmask_b32_e64 v8, 0, 1, s[0:1]
	s_mov_b32 s0, 0
	v_add_co_u32_e32 v0, vcc, v10, v6
	v_mov_b32_e32 v9, s0
	v_addc_co_u32_e32 v1, vcc, v11, v7, vcc
.LBB24_74:
	s_or_b64 exec, exec, s[4:5]
	v_lshlrev_b64 v[2:3], 4, v[2:3]
	v_mov_b32_e32 v7, s13
	v_add_co_u32_e32 v6, vcc, s12, v2
	v_addc_co_u32_e32 v7, vcc, v7, v3, vcc
	v_add_co_u32_e32 v2, vcc, v8, v4
	v_addc_co_u32_e32 v3, vcc, v9, v5, vcc
	v_sub_co_u32_e32 v2, vcc, v2, v0
	v_subb_co_u32_e32 v3, vcc, v3, v1, vcc
	global_store_dwordx4 v[6:7], v[0:3], off
	s_endpgm
	.section	.rodata,"a",@progbits
	.p2align	6, 0x0
	.amdhsa_kernel _ZN6thrust23THRUST_200600_302600_NS11hip_rocprim14__parallel_for6kernelILj256EZNS1_16__set_operations9doit_stepILb0ENS0_6detail15normal_iteratorINS0_10device_ptrIKiEEEESB_PiSC_lNS7_INS8_IiEEEESC_NS0_4lessIiEENS4_21serial_set_differenceEEE10hipError_tPvRmT0_T1_T2_T3_T4_SP_T5_T6_PSP_T7_T8_P12ihipStream_tbEUllE_jLj1EEEvSL_SM_SM_
		.amdhsa_group_segment_fixed_size 0
		.amdhsa_private_segment_fixed_size 0
		.amdhsa_kernarg_size 56
		.amdhsa_user_sgpr_count 6
		.amdhsa_user_sgpr_private_segment_buffer 1
		.amdhsa_user_sgpr_dispatch_ptr 0
		.amdhsa_user_sgpr_queue_ptr 0
		.amdhsa_user_sgpr_kernarg_segment_ptr 1
		.amdhsa_user_sgpr_dispatch_id 0
		.amdhsa_user_sgpr_flat_scratch_init 0
		.amdhsa_user_sgpr_private_segment_size 0
		.amdhsa_uses_dynamic_stack 0
		.amdhsa_system_sgpr_private_segment_wavefront_offset 0
		.amdhsa_system_sgpr_workgroup_id_x 1
		.amdhsa_system_sgpr_workgroup_id_y 0
		.amdhsa_system_sgpr_workgroup_id_z 0
		.amdhsa_system_sgpr_workgroup_info 0
		.amdhsa_system_vgpr_workitem_id 0
		.amdhsa_next_free_vgpr 25
		.amdhsa_next_free_sgpr 20
		.amdhsa_reserve_vcc 1
		.amdhsa_reserve_flat_scratch 0
		.amdhsa_float_round_mode_32 0
		.amdhsa_float_round_mode_16_64 0
		.amdhsa_float_denorm_mode_32 3
		.amdhsa_float_denorm_mode_16_64 3
		.amdhsa_dx10_clamp 1
		.amdhsa_ieee_mode 1
		.amdhsa_fp16_overflow 0
		.amdhsa_exception_fp_ieee_invalid_op 0
		.amdhsa_exception_fp_denorm_src 0
		.amdhsa_exception_fp_ieee_div_zero 0
		.amdhsa_exception_fp_ieee_overflow 0
		.amdhsa_exception_fp_ieee_underflow 0
		.amdhsa_exception_fp_ieee_inexact 0
		.amdhsa_exception_int_div_zero 0
	.end_amdhsa_kernel
	.section	.text._ZN6thrust23THRUST_200600_302600_NS11hip_rocprim14__parallel_for6kernelILj256EZNS1_16__set_operations9doit_stepILb0ENS0_6detail15normal_iteratorINS0_10device_ptrIKiEEEESB_PiSC_lNS7_INS8_IiEEEESC_NS0_4lessIiEENS4_21serial_set_differenceEEE10hipError_tPvRmT0_T1_T2_T3_T4_SP_T5_T6_PSP_T7_T8_P12ihipStream_tbEUllE_jLj1EEEvSL_SM_SM_,"axG",@progbits,_ZN6thrust23THRUST_200600_302600_NS11hip_rocprim14__parallel_for6kernelILj256EZNS1_16__set_operations9doit_stepILb0ENS0_6detail15normal_iteratorINS0_10device_ptrIKiEEEESB_PiSC_lNS7_INS8_IiEEEESC_NS0_4lessIiEENS4_21serial_set_differenceEEE10hipError_tPvRmT0_T1_T2_T3_T4_SP_T5_T6_PSP_T7_T8_P12ihipStream_tbEUllE_jLj1EEEvSL_SM_SM_,comdat
.Lfunc_end24:
	.size	_ZN6thrust23THRUST_200600_302600_NS11hip_rocprim14__parallel_for6kernelILj256EZNS1_16__set_operations9doit_stepILb0ENS0_6detail15normal_iteratorINS0_10device_ptrIKiEEEESB_PiSC_lNS7_INS8_IiEEEESC_NS0_4lessIiEENS4_21serial_set_differenceEEE10hipError_tPvRmT0_T1_T2_T3_T4_SP_T5_T6_PSP_T7_T8_P12ihipStream_tbEUllE_jLj1EEEvSL_SM_SM_, .Lfunc_end24-_ZN6thrust23THRUST_200600_302600_NS11hip_rocprim14__parallel_for6kernelILj256EZNS1_16__set_operations9doit_stepILb0ENS0_6detail15normal_iteratorINS0_10device_ptrIKiEEEESB_PiSC_lNS7_INS8_IiEEEESC_NS0_4lessIiEENS4_21serial_set_differenceEEE10hipError_tPvRmT0_T1_T2_T3_T4_SP_T5_T6_PSP_T7_T8_P12ihipStream_tbEUllE_jLj1EEEvSL_SM_SM_
                                        ; -- End function
	.set _ZN6thrust23THRUST_200600_302600_NS11hip_rocprim14__parallel_for6kernelILj256EZNS1_16__set_operations9doit_stepILb0ENS0_6detail15normal_iteratorINS0_10device_ptrIKiEEEESB_PiSC_lNS7_INS8_IiEEEESC_NS0_4lessIiEENS4_21serial_set_differenceEEE10hipError_tPvRmT0_T1_T2_T3_T4_SP_T5_T6_PSP_T7_T8_P12ihipStream_tbEUllE_jLj1EEEvSL_SM_SM_.num_vgpr, 25
	.set _ZN6thrust23THRUST_200600_302600_NS11hip_rocprim14__parallel_for6kernelILj256EZNS1_16__set_operations9doit_stepILb0ENS0_6detail15normal_iteratorINS0_10device_ptrIKiEEEESB_PiSC_lNS7_INS8_IiEEEESC_NS0_4lessIiEENS4_21serial_set_differenceEEE10hipError_tPvRmT0_T1_T2_T3_T4_SP_T5_T6_PSP_T7_T8_P12ihipStream_tbEUllE_jLj1EEEvSL_SM_SM_.num_agpr, 0
	.set _ZN6thrust23THRUST_200600_302600_NS11hip_rocprim14__parallel_for6kernelILj256EZNS1_16__set_operations9doit_stepILb0ENS0_6detail15normal_iteratorINS0_10device_ptrIKiEEEESB_PiSC_lNS7_INS8_IiEEEESC_NS0_4lessIiEENS4_21serial_set_differenceEEE10hipError_tPvRmT0_T1_T2_T3_T4_SP_T5_T6_PSP_T7_T8_P12ihipStream_tbEUllE_jLj1EEEvSL_SM_SM_.numbered_sgpr, 20
	.set _ZN6thrust23THRUST_200600_302600_NS11hip_rocprim14__parallel_for6kernelILj256EZNS1_16__set_operations9doit_stepILb0ENS0_6detail15normal_iteratorINS0_10device_ptrIKiEEEESB_PiSC_lNS7_INS8_IiEEEESC_NS0_4lessIiEENS4_21serial_set_differenceEEE10hipError_tPvRmT0_T1_T2_T3_T4_SP_T5_T6_PSP_T7_T8_P12ihipStream_tbEUllE_jLj1EEEvSL_SM_SM_.num_named_barrier, 0
	.set _ZN6thrust23THRUST_200600_302600_NS11hip_rocprim14__parallel_for6kernelILj256EZNS1_16__set_operations9doit_stepILb0ENS0_6detail15normal_iteratorINS0_10device_ptrIKiEEEESB_PiSC_lNS7_INS8_IiEEEESC_NS0_4lessIiEENS4_21serial_set_differenceEEE10hipError_tPvRmT0_T1_T2_T3_T4_SP_T5_T6_PSP_T7_T8_P12ihipStream_tbEUllE_jLj1EEEvSL_SM_SM_.private_seg_size, 0
	.set _ZN6thrust23THRUST_200600_302600_NS11hip_rocprim14__parallel_for6kernelILj256EZNS1_16__set_operations9doit_stepILb0ENS0_6detail15normal_iteratorINS0_10device_ptrIKiEEEESB_PiSC_lNS7_INS8_IiEEEESC_NS0_4lessIiEENS4_21serial_set_differenceEEE10hipError_tPvRmT0_T1_T2_T3_T4_SP_T5_T6_PSP_T7_T8_P12ihipStream_tbEUllE_jLj1EEEvSL_SM_SM_.uses_vcc, 1
	.set _ZN6thrust23THRUST_200600_302600_NS11hip_rocprim14__parallel_for6kernelILj256EZNS1_16__set_operations9doit_stepILb0ENS0_6detail15normal_iteratorINS0_10device_ptrIKiEEEESB_PiSC_lNS7_INS8_IiEEEESC_NS0_4lessIiEENS4_21serial_set_differenceEEE10hipError_tPvRmT0_T1_T2_T3_T4_SP_T5_T6_PSP_T7_T8_P12ihipStream_tbEUllE_jLj1EEEvSL_SM_SM_.uses_flat_scratch, 0
	.set _ZN6thrust23THRUST_200600_302600_NS11hip_rocprim14__parallel_for6kernelILj256EZNS1_16__set_operations9doit_stepILb0ENS0_6detail15normal_iteratorINS0_10device_ptrIKiEEEESB_PiSC_lNS7_INS8_IiEEEESC_NS0_4lessIiEENS4_21serial_set_differenceEEE10hipError_tPvRmT0_T1_T2_T3_T4_SP_T5_T6_PSP_T7_T8_P12ihipStream_tbEUllE_jLj1EEEvSL_SM_SM_.has_dyn_sized_stack, 0
	.set _ZN6thrust23THRUST_200600_302600_NS11hip_rocprim14__parallel_for6kernelILj256EZNS1_16__set_operations9doit_stepILb0ENS0_6detail15normal_iteratorINS0_10device_ptrIKiEEEESB_PiSC_lNS7_INS8_IiEEEESC_NS0_4lessIiEENS4_21serial_set_differenceEEE10hipError_tPvRmT0_T1_T2_T3_T4_SP_T5_T6_PSP_T7_T8_P12ihipStream_tbEUllE_jLj1EEEvSL_SM_SM_.has_recursion, 0
	.set _ZN6thrust23THRUST_200600_302600_NS11hip_rocprim14__parallel_for6kernelILj256EZNS1_16__set_operations9doit_stepILb0ENS0_6detail15normal_iteratorINS0_10device_ptrIKiEEEESB_PiSC_lNS7_INS8_IiEEEESC_NS0_4lessIiEENS4_21serial_set_differenceEEE10hipError_tPvRmT0_T1_T2_T3_T4_SP_T5_T6_PSP_T7_T8_P12ihipStream_tbEUllE_jLj1EEEvSL_SM_SM_.has_indirect_call, 0
	.section	.AMDGPU.csdata,"",@progbits
; Kernel info:
; codeLenInByte = 3912
; TotalNumSgprs: 24
; NumVgprs: 25
; ScratchSize: 0
; MemoryBound: 0
; FloatMode: 240
; IeeeMode: 1
; LDSByteSize: 0 bytes/workgroup (compile time only)
; SGPRBlocks: 2
; VGPRBlocks: 6
; NumSGPRsForWavesPerEU: 24
; NumVGPRsForWavesPerEU: 25
; Occupancy: 9
; WaveLimiterHint : 0
; COMPUTE_PGM_RSRC2:SCRATCH_EN: 0
; COMPUTE_PGM_RSRC2:USER_SGPR: 6
; COMPUTE_PGM_RSRC2:TRAP_HANDLER: 0
; COMPUTE_PGM_RSRC2:TGID_X_EN: 1
; COMPUTE_PGM_RSRC2:TGID_Y_EN: 0
; COMPUTE_PGM_RSRC2:TGID_Z_EN: 0
; COMPUTE_PGM_RSRC2:TIDIG_COMP_CNT: 0
	.section	.text._ZN6thrust23THRUST_200600_302600_NS11hip_rocprim16__set_operations22lookback_set_op_kernelIN7rocprim17ROCPRIM_400000_NS13kernel_configILj256ELj16ELj4294967295EEELb0ENS0_6detail15normal_iteratorINS0_10device_ptrIKiEEEESD_PiSE_lNS9_INSA_IiEEEESE_NS0_4lessIiEENS2_21serial_set_differenceENS5_6detail19lookback_scan_stateIlLb0ELb1EEEEEvT1_T2_T3_T4_T6_T7_T8_T9_PNS0_4pairIT5_SW_EEPSW_T10_NSK_16ordered_block_idIjEE,"axG",@progbits,_ZN6thrust23THRUST_200600_302600_NS11hip_rocprim16__set_operations22lookback_set_op_kernelIN7rocprim17ROCPRIM_400000_NS13kernel_configILj256ELj16ELj4294967295EEELb0ENS0_6detail15normal_iteratorINS0_10device_ptrIKiEEEESD_PiSE_lNS9_INSA_IiEEEESE_NS0_4lessIiEENS2_21serial_set_differenceENS5_6detail19lookback_scan_stateIlLb0ELb1EEEEEvT1_T2_T3_T4_T6_T7_T8_T9_PNS0_4pairIT5_SW_EEPSW_T10_NSK_16ordered_block_idIjEE,comdat
	.protected	_ZN6thrust23THRUST_200600_302600_NS11hip_rocprim16__set_operations22lookback_set_op_kernelIN7rocprim17ROCPRIM_400000_NS13kernel_configILj256ELj16ELj4294967295EEELb0ENS0_6detail15normal_iteratorINS0_10device_ptrIKiEEEESD_PiSE_lNS9_INSA_IiEEEESE_NS0_4lessIiEENS2_21serial_set_differenceENS5_6detail19lookback_scan_stateIlLb0ELb1EEEEEvT1_T2_T3_T4_T6_T7_T8_T9_PNS0_4pairIT5_SW_EEPSW_T10_NSK_16ordered_block_idIjEE ; -- Begin function _ZN6thrust23THRUST_200600_302600_NS11hip_rocprim16__set_operations22lookback_set_op_kernelIN7rocprim17ROCPRIM_400000_NS13kernel_configILj256ELj16ELj4294967295EEELb0ENS0_6detail15normal_iteratorINS0_10device_ptrIKiEEEESD_PiSE_lNS9_INSA_IiEEEESE_NS0_4lessIiEENS2_21serial_set_differenceENS5_6detail19lookback_scan_stateIlLb0ELb1EEEEEvT1_T2_T3_T4_T6_T7_T8_T9_PNS0_4pairIT5_SW_EEPSW_T10_NSK_16ordered_block_idIjEE
	.globl	_ZN6thrust23THRUST_200600_302600_NS11hip_rocprim16__set_operations22lookback_set_op_kernelIN7rocprim17ROCPRIM_400000_NS13kernel_configILj256ELj16ELj4294967295EEELb0ENS0_6detail15normal_iteratorINS0_10device_ptrIKiEEEESD_PiSE_lNS9_INSA_IiEEEESE_NS0_4lessIiEENS2_21serial_set_differenceENS5_6detail19lookback_scan_stateIlLb0ELb1EEEEEvT1_T2_T3_T4_T6_T7_T8_T9_PNS0_4pairIT5_SW_EEPSW_T10_NSK_16ordered_block_idIjEE
	.p2align	8
	.type	_ZN6thrust23THRUST_200600_302600_NS11hip_rocprim16__set_operations22lookback_set_op_kernelIN7rocprim17ROCPRIM_400000_NS13kernel_configILj256ELj16ELj4294967295EEELb0ENS0_6detail15normal_iteratorINS0_10device_ptrIKiEEEESD_PiSE_lNS9_INSA_IiEEEESE_NS0_4lessIiEENS2_21serial_set_differenceENS5_6detail19lookback_scan_stateIlLb0ELb1EEEEEvT1_T2_T3_T4_T6_T7_T8_T9_PNS0_4pairIT5_SW_EEPSW_T10_NSK_16ordered_block_idIjEE,@function
_ZN6thrust23THRUST_200600_302600_NS11hip_rocprim16__set_operations22lookback_set_op_kernelIN7rocprim17ROCPRIM_400000_NS13kernel_configILj256ELj16ELj4294967295EEELb0ENS0_6detail15normal_iteratorINS0_10device_ptrIKiEEEESD_PiSE_lNS9_INSA_IiEEEESE_NS0_4lessIiEENS2_21serial_set_differenceENS5_6detail19lookback_scan_stateIlLb0ELb1EEEEEvT1_T2_T3_T4_T6_T7_T8_T9_PNS0_4pairIT5_SW_EEPSW_T10_NSK_16ordered_block_idIjEE: ; @_ZN6thrust23THRUST_200600_302600_NS11hip_rocprim16__set_operations22lookback_set_op_kernelIN7rocprim17ROCPRIM_400000_NS13kernel_configILj256ELj16ELj4294967295EEELb0ENS0_6detail15normal_iteratorINS0_10device_ptrIKiEEEESD_PiSE_lNS9_INSA_IiEEEESE_NS0_4lessIiEENS2_21serial_set_differenceENS5_6detail19lookback_scan_stateIlLb0ELb1EEEEEvT1_T2_T3_T4_T6_T7_T8_T9_PNS0_4pairIT5_SW_EEPSW_T10_NSK_16ordered_block_idIjEE
; %bb.0:
	s_load_dword s0, s[4:5], 0x64
	s_load_dword s16, s[4:5], 0x58
	s_load_dwordx8 s[8:15], s[4:5], 0x38
	s_waitcnt lgkmcnt(0)
	s_lshr_b32 s1, s0, 16
	s_and_b32 s0, s0, 0xffff
	v_mad_u32_u24 v1, v2, s1, v1
	v_mul_lo_u32 v1, v1, s0
	v_sub_u32_e32 v2, 0, v0
	v_cmp_eq_u32_e32 vcc, v1, v2
	s_and_saveexec_b64 s[0:1], vcc
	s_cbranch_execz .LBB25_4
; %bb.1:
	s_mov_b64 s[6:7], exec
	v_mbcnt_lo_u32_b32 v1, s6, 0
	v_mbcnt_hi_u32_b32 v1, s7, v1
	v_cmp_eq_u32_e32 vcc, 0, v1
                                        ; implicit-def: $vgpr2
	s_and_saveexec_b64 s[2:3], vcc
	s_cbranch_execz .LBB25_3
; %bb.2:
	s_bcnt1_i32_b64 s6, s[6:7]
	v_mov_b32_e32 v2, 0
	v_mov_b32_e32 v3, s6
	global_atomic_add v2, v2, v3, s[14:15] glc
.LBB25_3:
	s_or_b64 exec, exec, s[2:3]
	s_waitcnt vmcnt(0)
	v_readfirstlane_b32 s2, v2
	v_add_u32_e32 v1, s2, v1
	v_mov_b32_e32 v2, 0
	ds_write_b32 v2, v1 offset:36864
.LBB25_4:
	s_or_b64 exec, exec, s[0:1]
	v_mov_b32_e32 v1, 0
	s_waitcnt lgkmcnt(0)
	s_barrier
	ds_read_b32 v9, v1 offset:36864
	s_add_i32 s16, s16, -1
	s_waitcnt lgkmcnt(0)
	v_readfirstlane_b32 s14, v9
	s_ashr_i32 s15, s14, 31
	s_lshl_b64 s[0:1], s[14:15], 4
	s_add_u32 s0, s8, s0
	s_addc_u32 s1, s9, s1
	global_load_dwordx4 v[2:5], v1, s[0:1] offset:16
	global_load_dwordx4 v[5:8], v1, s[0:1]
                                        ; kill: killed $sgpr0 killed $sgpr1
	s_load_dwordx4 s[0:3], s[4:5], 0x0
	s_load_dwordx2 s[6:7], s[4:5], 0x20
	v_cmp_le_i32_e32 vcc, s16, v9
	s_and_b64 vcc, exec, vcc
	s_waitcnt lgkmcnt(0)
	v_mov_b32_e32 v10, s1
	v_mov_b32_e32 v11, s3
	s_waitcnt vmcnt(0)
	v_sub_u32_e32 v18, v2, v5
	v_lshlrev_b64 v[2:3], 2, v[5:6]
	v_sub_u32_e32 v19, v4, v7
	v_lshlrev_b64 v[4:5], 2, v[7:8]
	v_add_co_u32_e64 v22, s[0:1], s0, v2
	v_addc_co_u32_e64 v23, s[0:1], v10, v3, s[0:1]
	v_add_co_u32_e64 v20, s[0:1], s2, v4
	v_addc_co_u32_e64 v21, s[0:1], v11, v5, s[0:1]
	s_mov_b64 s[0:1], -1
	s_cbranch_vccz .LBB25_243
; %bb.5:
	v_add_u32_e32 v3, v19, v18
	v_cmp_lt_i32_e32 vcc, v0, v3
	v_mov_b32_e32 v2, v1
	v_mov_b32_e32 v4, v1
	;; [unrolled: 1-line block ×15, first 2 shown]
	s_and_saveexec_b64 s[0:1], vcc
	s_cbranch_execz .LBB25_7
; %bb.6:
	v_lshlrev_b32_e32 v1, 2, v0
	v_mov_b32_e32 v2, 0
	v_add_co_u32_e32 v6, vcc, v22, v1
	v_sub_u32_e32 v1, v0, v18
	v_lshlrev_b64 v[4:5], 2, v[1:2]
	v_addc_co_u32_e32 v7, vcc, 0, v23, vcc
	v_add_co_u32_e32 v1, vcc, v20, v4
	v_addc_co_u32_e32 v4, vcc, v21, v5, vcc
	v_cmp_lt_i32_e32 vcc, v0, v18
	v_cndmask_b32_e32 v5, v4, v7, vcc
	v_cndmask_b32_e32 v4, v1, v6, vcc
	global_load_dword v1, v[4:5], off
	v_mov_b32_e32 v4, v2
	v_mov_b32_e32 v6, v2
	;; [unrolled: 1-line block ×14, first 2 shown]
.LBB25_7:
	s_or_b64 exec, exec, s[0:1]
	v_or_b32_e32 v24, 0x100, v0
	v_cmp_lt_i32_e32 vcc, v24, v3
	s_and_saveexec_b64 s[0:1], vcc
	s_cbranch_execz .LBB25_9
; %bb.8:
	v_lshlrev_b32_e32 v2, 2, v0
	v_add_co_u32_e32 v2, vcc, v22, v2
	v_addc_co_u32_e32 v25, vcc, 0, v23, vcc
	v_add_co_u32_e32 v2, vcc, 0x400, v2
	v_mov_b32_e32 v26, 0
	v_addc_co_u32_e32 v27, vcc, 0, v25, vcc
	v_sub_u32_e32 v25, v24, v18
	v_lshlrev_b64 v[25:26], 2, v[25:26]
	v_add_co_u32_e32 v28, vcc, v20, v25
	v_addc_co_u32_e32 v25, vcc, v21, v26, vcc
	v_cmp_lt_i32_e32 vcc, v24, v18
	v_cndmask_b32_e32 v25, v25, v27, vcc
	v_cndmask_b32_e32 v24, v28, v2, vcc
	global_load_dword v2, v[24:25], off
.LBB25_9:
	s_or_b64 exec, exec, s[0:1]
	v_or_b32_e32 v24, 0x200, v0
	v_cmp_lt_i32_e32 vcc, v24, v3
	s_and_saveexec_b64 s[0:1], vcc
	s_cbranch_execz .LBB25_11
; %bb.10:
	v_lshlrev_b32_e32 v4, 2, v0
	v_add_co_u32_e32 v4, vcc, v22, v4
	v_addc_co_u32_e32 v25, vcc, 0, v23, vcc
	v_add_co_u32_e32 v4, vcc, 0x800, v4
	v_mov_b32_e32 v26, 0
	v_addc_co_u32_e32 v27, vcc, 0, v25, vcc
	v_sub_u32_e32 v25, v24, v18
	v_lshlrev_b64 v[25:26], 2, v[25:26]
	v_add_co_u32_e32 v28, vcc, v20, v25
	v_addc_co_u32_e32 v25, vcc, v21, v26, vcc
	v_cmp_lt_i32_e32 vcc, v24, v18
	v_cndmask_b32_e32 v25, v25, v27, vcc
	v_cndmask_b32_e32 v24, v28, v4, vcc
	global_load_dword v4, v[24:25], off
.LBB25_11:
	;; [unrolled: 21-line block ×3, first 2 shown]
	s_or_b64 exec, exec, s[0:1]
	v_or_b32_e32 v24, 0x400, v0
	v_cmp_lt_i32_e32 vcc, v24, v3
	s_and_saveexec_b64 s[0:1], vcc
	s_cbranch_execz .LBB25_15
; %bb.14:
	v_lshlrev_b32_e32 v5, 2, v24
	v_mov_b32_e32 v26, 0
	v_sub_u32_e32 v25, v24, v18
	v_add_co_u32_e32 v5, vcc, v22, v5
	v_lshlrev_b64 v[25:26], 2, v[25:26]
	v_addc_co_u32_e32 v27, vcc, 0, v23, vcc
	v_add_co_u32_e32 v28, vcc, v20, v25
	v_addc_co_u32_e32 v25, vcc, v21, v26, vcc
	v_cmp_lt_i32_e32 vcc, v24, v18
	v_cndmask_b32_e32 v25, v25, v27, vcc
	v_cndmask_b32_e32 v24, v28, v5, vcc
	global_load_dword v5, v[24:25], off
.LBB25_15:
	s_or_b64 exec, exec, s[0:1]
	v_or_b32_e32 v24, 0x500, v0
	v_cmp_lt_i32_e32 vcc, v24, v3
	s_and_saveexec_b64 s[0:1], vcc
	s_cbranch_execz .LBB25_17
; %bb.16:
	v_lshlrev_b32_e32 v7, 2, v24
	v_mov_b32_e32 v26, 0
	v_sub_u32_e32 v25, v24, v18
	v_add_co_u32_e32 v7, vcc, v22, v7
	v_lshlrev_b64 v[25:26], 2, v[25:26]
	v_addc_co_u32_e32 v27, vcc, 0, v23, vcc
	v_add_co_u32_e32 v28, vcc, v20, v25
	v_addc_co_u32_e32 v25, vcc, v21, v26, vcc
	v_cmp_lt_i32_e32 vcc, v24, v18
	v_cndmask_b32_e32 v25, v25, v27, vcc
	v_cndmask_b32_e32 v24, v28, v7, vcc
	global_load_dword v7, v[24:25], off
.LBB25_17:
	;; [unrolled: 19-line block ×12, first 2 shown]
	s_or_b64 exec, exec, s[0:1]
	v_lshlrev_b32_e32 v24, 2, v0
	s_waitcnt vmcnt(0)
	ds_write2st64_b32 v24, v1, v2 offset0:76 offset1:80
	ds_write2st64_b32 v24, v4, v6 offset0:84 offset1:88
	;; [unrolled: 1-line block ×8, first 2 shown]
	v_lshlrev_b32_e32 v1, 4, v0
	v_min_i32_e32 v2, v3, v1
	v_lshlrev_b32_e32 v1, 2, v18
	v_add_u32_e32 v3, 0x4800, v1
	v_sub_u32_e32 v1, v2, v19
	v_max_i32_e32 v1, 0, v1
	v_min_i32_e32 v4, v18, v2
	v_cmp_lt_i32_e32 vcc, v1, v4
	s_waitcnt lgkmcnt(0)
	s_barrier
	s_and_saveexec_b64 s[0:1], vcc
	s_cbranch_execz .LBB25_41
; %bb.38:
	v_lshl_add_u32 v5, v2, 2, v3
	v_add_u32_e32 v5, 0x400, v5
	s_mov_b64 s[2:3], 0
.LBB25_39:                              ; =>This Inner Loop Header: Depth=1
	v_add_u32_e32 v6, v4, v1
	v_lshrrev_b32_e32 v6, 1, v6
	v_not_b32_e32 v8, v6
	v_lshlrev_b32_e32 v7, 2, v6
	v_lshl_add_u32 v8, v8, 2, v5
	ds_read_b32 v7, v7 offset:19456
	ds_read_b32 v8, v8
	v_add_u32_e32 v9, 1, v6
	s_waitcnt lgkmcnt(0)
	v_cmp_lt_i32_e32 vcc, v8, v7
	v_cndmask_b32_e32 v4, v4, v6, vcc
	v_cndmask_b32_e32 v1, v9, v1, vcc
	v_cmp_ge_i32_e32 vcc, v1, v4
	s_or_b64 s[2:3], vcc, s[2:3]
	s_andn2_b64 exec, exec, s[2:3]
	s_cbranch_execnz .LBB25_39
; %bb.40:
	s_or_b64 exec, exec, s[2:3]
.LBB25_41:
	s_or_b64 exec, exec, s[0:1]
	v_sub_u32_e32 v8, v2, v1
	v_or_b32_e32 v4, 0x4800, v24
	v_cmp_lt_i32_e32 vcc, v8, v19
	v_mov_b32_e32 v6, 0
	s_and_saveexec_b64 s[2:3], vcc
	s_cbranch_execz .LBB25_71
; %bb.42:
	v_lshl_add_u32 v6, v8, 2, v3
	ds_read_b32 v7, v6 offset:1024
	v_mov_b32_e32 v5, 0
	v_cmp_lt_i32_e32 vcc, 0, v1
	v_mov_b32_e32 v9, 0
	s_and_saveexec_b64 s[0:1], vcc
	s_cbranch_execnz .LBB25_47
; %bb.43:
	s_or_b64 exec, exec, s[0:1]
	v_cmp_lt_i32_e32 vcc, v5, v9
	s_and_saveexec_b64 s[0:1], vcc
	s_cbranch_execnz .LBB25_48
.LBB25_44:
	s_or_b64 exec, exec, s[0:1]
	v_cmp_lt_i32_e32 vcc, v5, v9
	s_and_saveexec_b64 s[0:1], vcc
	s_cbranch_execnz .LBB25_49
.LBB25_45:
	s_or_b64 exec, exec, s[0:1]
	v_cmp_lt_i32_e32 vcc, v5, v9
	s_and_saveexec_b64 s[0:1], vcc
	s_cbranch_execnz .LBB25_50
.LBB25_46:
	s_or_b64 exec, exec, s[0:1]
	v_cmp_lt_i32_e32 vcc, v5, v9
	s_and_saveexec_b64 s[0:1], vcc
	s_cbranch_execnz .LBB25_51
	s_branch .LBB25_54
.LBB25_47:
	s_movk_i32 s4, 0x1ff
	v_mul_lo_u32 v5, v1, s4
	v_ashrrev_i32_e32 v9, 9, v5
	v_lshlrev_b32_e32 v5, 2, v9
	ds_read_b32 v5, v5 offset:19456
	v_add_u32_e32 v10, 1, v9
	s_waitcnt lgkmcnt(0)
	v_cmp_lt_i32_e32 vcc, v5, v7
	v_cndmask_b32_e32 v5, 0, v10, vcc
	v_cndmask_b32_e32 v9, v9, v1, vcc
	s_or_b64 exec, exec, s[0:1]
	v_cmp_lt_i32_e32 vcc, v5, v9
	s_and_saveexec_b64 s[0:1], vcc
	s_cbranch_execz .LBB25_44
.LBB25_48:
	v_sub_u32_e32 v10, v5, v9
	v_lshl_add_u32 v10, v9, 7, v10
	v_ashrrev_i32_e32 v10, 7, v10
	v_lshlrev_b32_e32 v11, 2, v10
	ds_read_b32 v11, v11 offset:19456
	v_add_u32_e32 v12, 1, v10
	s_waitcnt lgkmcnt(0)
	v_cmp_lt_i32_e32 vcc, v11, v7
	v_cndmask_b32_e32 v5, v5, v12, vcc
	v_cndmask_b32_e32 v9, v10, v9, vcc
	s_or_b64 exec, exec, s[0:1]
	v_cmp_lt_i32_e32 vcc, v5, v9
	s_and_saveexec_b64 s[0:1], vcc
	s_cbranch_execz .LBB25_45
.LBB25_49:
	v_sub_u32_e32 v10, v5, v9
	v_lshl_add_u32 v10, v9, 5, v10
	v_ashrrev_i32_e32 v10, 5, v10
	v_lshlrev_b32_e32 v11, 2, v10
	ds_read_b32 v11, v11 offset:19456
	v_add_u32_e32 v12, 1, v10
	s_waitcnt lgkmcnt(0)
	v_cmp_lt_i32_e32 vcc, v11, v7
	v_cndmask_b32_e32 v5, v5, v12, vcc
	v_cndmask_b32_e32 v9, v10, v9, vcc
	s_or_b64 exec, exec, s[0:1]
	v_cmp_lt_i32_e32 vcc, v5, v9
	s_and_saveexec_b64 s[0:1], vcc
	s_cbranch_execz .LBB25_46
.LBB25_50:
	v_sub_u32_e32 v10, v5, v9
	v_lshl_add_u32 v10, v9, 4, v10
	v_ashrrev_i32_e32 v10, 4, v10
	v_lshlrev_b32_e32 v11, 2, v10
	ds_read_b32 v11, v11 offset:19456
	v_add_u32_e32 v12, 1, v10
	s_waitcnt lgkmcnt(0)
	v_cmp_lt_i32_e32 vcc, v11, v7
	v_cndmask_b32_e32 v5, v5, v12, vcc
	v_cndmask_b32_e32 v9, v10, v9, vcc
	s_or_b64 exec, exec, s[0:1]
	v_cmp_lt_i32_e32 vcc, v5, v9
	s_and_saveexec_b64 s[0:1], vcc
	s_cbranch_execz .LBB25_54
.LBB25_51:
	s_mov_b64 s[4:5], 0
.LBB25_52:                              ; =>This Inner Loop Header: Depth=1
	v_sub_u32_e32 v10, v5, v9
	v_lshl_add_u32 v10, v9, 1, v10
	v_ashrrev_i32_e32 v10, 1, v10
	v_lshlrev_b32_e32 v11, 2, v10
	ds_read_b32 v11, v11 offset:19456
	v_add_u32_e32 v12, 1, v10
	s_waitcnt lgkmcnt(0)
	v_cmp_lt_i32_e32 vcc, v11, v7
	v_cndmask_b32_e32 v5, v5, v12, vcc
	v_cndmask_b32_e32 v9, v10, v9, vcc
	v_cmp_ge_i32_e32 vcc, v5, v9
	s_or_b64 s[4:5], vcc, s[4:5]
	s_andn2_b64 exec, exec, s[4:5]
	s_cbranch_execnz .LBB25_52
; %bb.53:
	s_or_b64 exec, exec, s[4:5]
.LBB25_54:
	s_or_b64 exec, exec, s[0:1]
	v_mov_b32_e32 v9, 0
	v_cmp_lt_i32_e32 vcc, 0, v8
	v_mov_b32_e32 v10, v8
	s_and_saveexec_b64 s[0:1], vcc
	s_cbranch_execnz .LBB25_59
; %bb.55:
	s_or_b64 exec, exec, s[0:1]
	v_cmp_lt_i32_e32 vcc, v9, v10
	s_and_saveexec_b64 s[0:1], vcc
	s_cbranch_execnz .LBB25_60
.LBB25_56:
	s_or_b64 exec, exec, s[0:1]
	v_cmp_lt_i32_e32 vcc, v9, v10
	s_and_saveexec_b64 s[0:1], vcc
	s_cbranch_execnz .LBB25_61
.LBB25_57:
	s_or_b64 exec, exec, s[0:1]
	v_cmp_lt_i32_e32 vcc, v9, v10
	s_and_saveexec_b64 s[0:1], vcc
	s_cbranch_execnz .LBB25_62
.LBB25_58:
	s_or_b64 exec, exec, s[0:1]
	v_cmp_lt_i32_e32 vcc, v9, v10
	s_and_saveexec_b64 s[0:1], vcc
	s_cbranch_execnz .LBB25_63
	s_branch .LBB25_66
.LBB25_59:
	s_movk_i32 s4, 0x1ff
	v_mul_lo_u32 v9, v8, s4
	v_lshrrev_b32_e32 v10, 9, v9
	v_lshl_add_u32 v9, v10, 2, v3
	ds_read_b32 v9, v9 offset:1024
	v_add_u32_e32 v11, 1, v10
	s_waitcnt lgkmcnt(0)
	v_cmp_lt_i32_e32 vcc, v9, v7
	v_cndmask_b32_e32 v9, 0, v11, vcc
	v_cndmask_b32_e32 v10, v10, v8, vcc
	s_or_b64 exec, exec, s[0:1]
	v_cmp_lt_i32_e32 vcc, v9, v10
	s_and_saveexec_b64 s[0:1], vcc
	s_cbranch_execz .LBB25_56
.LBB25_60:
	v_sub_u32_e32 v11, v9, v10
	v_lshl_add_u32 v11, v10, 7, v11
	v_ashrrev_i32_e32 v11, 7, v11
	v_lshl_add_u32 v12, v11, 2, v3
	ds_read_b32 v12, v12 offset:1024
	v_add_u32_e32 v13, 1, v11
	s_waitcnt lgkmcnt(0)
	v_cmp_lt_i32_e32 vcc, v12, v7
	v_cndmask_b32_e32 v9, v9, v13, vcc
	v_cndmask_b32_e32 v10, v11, v10, vcc
	s_or_b64 exec, exec, s[0:1]
	v_cmp_lt_i32_e32 vcc, v9, v10
	s_and_saveexec_b64 s[0:1], vcc
	s_cbranch_execz .LBB25_57
.LBB25_61:
	v_sub_u32_e32 v11, v9, v10
	v_lshl_add_u32 v11, v10, 5, v11
	v_ashrrev_i32_e32 v11, 5, v11
	v_lshl_add_u32 v12, v11, 2, v3
	ds_read_b32 v12, v12 offset:1024
	v_add_u32_e32 v13, 1, v11
	s_waitcnt lgkmcnt(0)
	v_cmp_lt_i32_e32 vcc, v12, v7
	v_cndmask_b32_e32 v9, v9, v13, vcc
	v_cndmask_b32_e32 v10, v11, v10, vcc
	s_or_b64 exec, exec, s[0:1]
	v_cmp_lt_i32_e32 vcc, v9, v10
	s_and_saveexec_b64 s[0:1], vcc
	s_cbranch_execz .LBB25_58
.LBB25_62:
	v_sub_u32_e32 v11, v9, v10
	v_lshl_add_u32 v11, v10, 4, v11
	v_ashrrev_i32_e32 v11, 4, v11
	v_lshl_add_u32 v12, v11, 2, v3
	ds_read_b32 v12, v12 offset:1024
	v_add_u32_e32 v13, 1, v11
	s_waitcnt lgkmcnt(0)
	v_cmp_lt_i32_e32 vcc, v12, v7
	v_cndmask_b32_e32 v9, v9, v13, vcc
	v_cndmask_b32_e32 v10, v11, v10, vcc
	s_or_b64 exec, exec, s[0:1]
	v_cmp_lt_i32_e32 vcc, v9, v10
	s_and_saveexec_b64 s[0:1], vcc
	s_cbranch_execz .LBB25_66
.LBB25_63:
	s_mov_b64 s[4:5], 0
.LBB25_64:                              ; =>This Inner Loop Header: Depth=1
	v_sub_u32_e32 v11, v9, v10
	v_lshl_add_u32 v11, v10, 1, v11
	v_ashrrev_i32_e32 v11, 1, v11
	v_lshl_add_u32 v12, v11, 2, v3
	ds_read_b32 v12, v12 offset:1024
	v_add_u32_e32 v13, 1, v11
	s_waitcnt lgkmcnt(0)
	v_cmp_lt_i32_e32 vcc, v12, v7
	v_cndmask_b32_e32 v9, v9, v13, vcc
	v_cndmask_b32_e32 v10, v11, v10, vcc
	v_cmp_ge_i32_e32 vcc, v9, v10
	s_or_b64 s[4:5], vcc, s[4:5]
	s_andn2_b64 exec, exec, s[4:5]
	s_cbranch_execnz .LBB25_64
; %bb.65:
	s_or_b64 exec, exec, s[4:5]
.LBB25_66:
	s_or_b64 exec, exec, s[0:1]
	v_sub_u32_e32 v1, v1, v5
	v_sub_u32_e32 v10, v8, v9
	v_add_u32_e32 v3, v10, v1
	v_ashrrev_i32_e32 v1, 1, v3
	v_max_i32_e32 v1, v1, v10
	v_add3_u32 v9, v9, v1, 1
	v_min_i32_e32 v9, v9, v19
	v_sub_u32_e32 v9, v9, v8
	v_mov_b32_e32 v8, 0
	v_cmp_lt_i32_e32 vcc, 0, v9
	s_and_saveexec_b64 s[0:1], vcc
	s_cbranch_execz .LBB25_70
; %bb.67:
	v_mov_b32_e32 v8, 0
	s_mov_b64 s[4:5], 0
.LBB25_68:                              ; =>This Inner Loop Header: Depth=1
	v_add_u32_e32 v11, v8, v9
	v_lshrrev_b32_e32 v11, 1, v11
	v_lshl_add_u32 v12, v11, 2, v6
	ds_read_b32 v12, v12 offset:1024
	v_add_u32_e32 v13, 1, v11
	s_waitcnt lgkmcnt(0)
	v_cmp_lt_i32_e32 vcc, v7, v12
	v_cndmask_b32_e32 v8, v13, v8, vcc
	v_cndmask_b32_e32 v9, v9, v11, vcc
	v_cmp_ge_i32_e32 vcc, v8, v9
	s_or_b64 s[4:5], vcc, s[4:5]
	s_andn2_b64 exec, exec, s[4:5]
	s_cbranch_execnz .LBB25_68
; %bb.69:
	s_or_b64 exec, exec, s[4:5]
.LBB25_70:
	s_or_b64 exec, exec, s[0:1]
	v_add_u32_e32 v6, v8, v10
	s_waitcnt lgkmcnt(0)
	v_min_i32_e32 v7, v6, v1
	v_sub_u32_e32 v3, v3, v7
	v_add_u32_e32 v7, 1, v7
	v_cmp_eq_u32_e32 vcc, v3, v7
	v_cmp_lt_i32_e64 s[0:1], v1, v6
	s_and_b64 s[0:1], s[0:1], vcc
	v_cndmask_b32_e64 v6, 0, 1, s[0:1]
	v_add_u32_e32 v1, v3, v5
.LBB25_71:
	s_or_b64 exec, exec, s[2:3]
	v_add_u32_e32 v2, v6, v2
	v_sub_u32_e32 v8, v2, v1
	v_lshlrev_b32_e32 v3, 16, v18
	v_or_b32_e32 v3, v3, v19
	v_lshl_or_b32 v5, v1, 16, v8
	v_subrev_co_u32_e64 v6, s[0:1], 1, v0
	v_cndmask_b32_e64 v3, v5, v3, s[0:1]
	v_mov_b32_e32 v5, 0xff
	v_cndmask_b32_e64 v5, v6, v5, s[0:1]
	v_lshlrev_b32_e32 v5, 2, v5
	ds_write_b32 v5, v3 offset:18432
	v_add_u32_e32 v3, v8, v18
	s_waitcnt lgkmcnt(0)
	s_barrier
	v_lshlrev_b32_e32 v6, 2, v1
	v_lshlrev_b32_e32 v5, 2, v3
	ds_read_b32 v4, v4
	ds_read_b32 v25, v6 offset:19456
	ds_read_b32 v7, v5 offset:19456
	s_waitcnt lgkmcnt(2)
	v_cmp_le_i32_sdwa s[4:5], v4, v8 src0_sel:WORD_0 src1_sel:DWORD
	v_cmp_le_i32_sdwa s[8:9], sext(v4), v1 src0_sel:WORD_1 src1_sel:DWORD
	s_waitcnt lgkmcnt(0)
	v_cmp_lt_i32_e32 vcc, v7, v25
	v_cndmask_b32_e64 v8, 0, 1, vcc
	v_cndmask_b32_e64 v9, 0, 1, s[8:9]
	s_or_b64 vcc, s[8:9], s[4:5]
	v_cndmask_b32_e32 v8, v8, v9, vcc
	v_and_b32_e32 v8, 1, v8
	v_cmp_eq_u32_e64 s[2:3], 1, v8
	s_xor_b64 s[16:17], s[2:3], -1
	v_mov_b32_e32 v26, v25
	s_and_saveexec_b64 s[2:3], s[16:17]
; %bb.72:
	v_add_u32_e32 v6, 0x4800, v6
	ds_read_b32 v26, v6 offset:1028
	v_add_u32_e32 v1, 1, v1
; %bb.73:
	s_or_b64 exec, exec, s[2:3]
	s_xor_b64 s[8:9], s[8:9], -1
	v_cmp_lt_i32_e64 s[2:3], v25, v7
	v_cndmask_b32_e64 v6, 0, 1, s[2:3]
	s_and_b64 s[2:3], s[4:5], s[8:9]
	v_cndmask_b32_e64 v8, 0, 1, s[2:3]
	v_cndmask_b32_e32 v6, v6, v8, vcc
	v_and_b32_e32 v6, 1, v6
	v_cmp_eq_u32_e32 vcc, 1, v6
	s_xor_b64 s[4:5], vcc, -1
	s_and_saveexec_b64 s[2:3], s[4:5]
; %bb.74:
	v_add_u32_e32 v5, 0x4800, v5
	ds_read_b32 v7, v5 offset:1028
	v_add_u32_e32 v3, 1, v3
; %bb.75:
	s_or_b64 exec, exec, s[2:3]
	v_add_u32_sdwa v8, v4, v18 dst_sel:DWORD dst_unused:UNUSED_PAD src0_sel:WORD_0 src1_sel:DWORD
	v_cmp_ge_i32_e64 s[2:3], v3, v8
	v_cmp_ge_i32_sdwa s[8:9], v1, sext(v4) src0_sel:DWORD src1_sel:WORD_1
	s_waitcnt lgkmcnt(0)
	v_cmp_lt_i32_e64 s[4:5], v7, v26
	v_cndmask_b32_e64 v5, 0, 1, s[8:9]
	v_cndmask_b32_e64 v6, 0, 1, s[4:5]
	s_or_b64 s[4:5], s[8:9], s[2:3]
	v_cndmask_b32_e64 v5, v6, v5, s[4:5]
	v_and_b32_e32 v5, 1, v5
	v_cmp_eq_u32_e64 s[4:5], 1, v5
	s_xor_b64 s[16:17], s[4:5], -1
	v_mov_b32_e32 v27, v26
	v_mov_b32_e32 v5, v1
	s_and_saveexec_b64 s[4:5], s[16:17]
; %bb.76:
	v_lshlrev_b32_e32 v5, 2, v1
	ds_read_b32 v27, v5 offset:19460
	v_add_u32_e32 v5, 1, v1
; %bb.77:
	s_or_b64 exec, exec, s[4:5]
	v_cmp_lt_i32_e64 s[4:5], v26, v7
	s_or_b64 s[2:3], s[2:3], s[4:5]
	s_xor_b64 s[4:5], s[8:9], -1
	s_and_b64 s[22:23], s[4:5], s[2:3]
	s_xor_b64 s[4:5], s[22:23], -1
	v_mov_b32_e32 v6, v3
	s_and_saveexec_b64 s[2:3], s[4:5]
; %bb.78:
	v_lshlrev_b32_e32 v6, 2, v3
	ds_read_b32 v7, v6 offset:19460
	v_add_u32_e32 v6, 1, v3
; %bb.79:
	s_or_b64 exec, exec, s[2:3]
	v_cmp_ge_i32_e64 s[2:3], v6, v8
	v_cmp_ge_i32_sdwa s[8:9], v5, sext(v4) src0_sel:DWORD src1_sel:WORD_1
	s_waitcnt lgkmcnt(0)
	v_cmp_lt_i32_e64 s[4:5], v7, v27
	v_cndmask_b32_e64 v9, 0, 1, s[8:9]
	v_cndmask_b32_e64 v10, 0, 1, s[4:5]
	s_or_b64 s[4:5], s[8:9], s[2:3]
	v_cndmask_b32_e64 v9, v10, v9, s[4:5]
	v_and_b32_e32 v9, 1, v9
	v_cmp_eq_u32_e64 s[4:5], 1, v9
	s_xor_b64 s[16:17], s[4:5], -1
	v_mov_b32_e32 v28, v27
	v_mov_b32_e32 v9, v5
	s_and_saveexec_b64 s[4:5], s[16:17]
; %bb.80:
	v_lshlrev_b32_e32 v9, 2, v5
	ds_read_b32 v28, v9 offset:19460
	v_add_u32_e32 v9, 1, v5
; %bb.81:
	s_or_b64 exec, exec, s[4:5]
	v_cmp_lt_i32_e64 s[4:5], v27, v7
	s_or_b64 s[2:3], s[2:3], s[4:5]
	s_xor_b64 s[4:5], s[8:9], -1
	s_and_b64 s[20:21], s[4:5], s[2:3]
	s_xor_b64 s[4:5], s[20:21], -1
	v_mov_b32_e32 v10, v6
	s_and_saveexec_b64 s[2:3], s[4:5]
; %bb.82:
	v_lshlrev_b32_e32 v7, 2, v6
	ds_read_b32 v7, v7 offset:19460
	v_add_u32_e32 v10, 1, v6
; %bb.83:
	s_or_b64 exec, exec, s[2:3]
	;; [unrolled: 33-line block ×14, first 2 shown]
	v_cmp_lt_i32_sdwa s[44:45], v56, sext(v4) src0_sel:DWORD src1_sel:WORD_1
	v_cmp_ge_i32_e64 s[2:3], v57, v8
	s_waitcnt lgkmcnt(0)
	v_cmp_lt_i32_e64 s[4:5], v40, v7
	v_add_u32_e32 v7, v57, v56
	v_add_u32_sdwa v4, v8, sext(v4) dst_sel:DWORD dst_unused:UNUSED_PAD src0_sel:DWORD src1_sel:WORD_1
	s_or_b64 s[4:5], s[2:3], s[4:5]
	v_cmp_lt_i32_e64 s[2:3], v7, v4
	s_and_b64 s[2:3], s[44:45], s[2:3]
	v_mov_b32_e32 v7, 0x8000
	s_and_b64 s[2:3], s[2:3], s[4:5]
	v_add_u32_e32 v8, v55, v54
	v_cndmask_b32_e64 v7, 0, v7, s[2:3]
	v_cmp_lt_i32_e64 s[2:3], v8, v4
	v_mov_b32_e32 v8, 0x4000
	s_and_b64 s[2:3], s[2:3], s[42:43]
	v_add_u32_e32 v52, v53, v52
	v_cndmask_b32_e64 v8, 0, v8, s[2:3]
	v_cmp_lt_i32_e64 s[2:3], v52, v4
	;; [unrolled: 5-line block ×9, first 2 shown]
	s_and_b64 s[2:3], s[2:3], s[24:25]
	v_add_u32_e32 v13, v14, v13
	v_cndmask_b32_e64 v15, 0, 64, s[2:3]
	v_cmp_lt_i32_e64 s[2:3], v13, v4
	v_add_u32_e32 v11, v12, v11
	s_and_b64 s[8:9], s[2:3], s[8:9]
	v_cmp_lt_i32_e64 s[2:3], v11, v4
	v_add_u32_e32 v9, v10, v9
	s_and_b64 s[16:17], s[2:3], s[16:17]
	;; [unrolled: 3-line block ×5, first 2 shown]
	v_cmp_lt_i32_e64 s[2:3], v2, v4
	s_and_b64 s[24:25], s[2:3], vcc
	v_cndmask_b32_e64 v5, 0, 4, s[20:21]
	v_cndmask_b32_e64 v1, 0, 2, s[22:23]
	;; [unrolled: 1-line block ×5, first 2 shown]
	v_or3_b32 v1, v1, v2, v5
	v_cndmask_b32_e64 v13, 0, 32, s[8:9]
	v_or3_b32 v1, v1, v9, v11
	v_or3_b32 v46, v1, v13, v15
	v_or_b32_e32 v45, v17, v46
	v_or3_b32 v44, v42, v44, v45
	v_or3_b32 v43, v47, v48, v44
	v_or3_b32 v42, v50, v52, v43
	v_or3_b32 v41, v8, v7, v42
	v_bcnt_u32_b32 v9, v41, 0
	s_cmp_lg_u32 s14, 0
	v_mov_b32_e32 v10, 0
	s_barrier
	s_cbranch_scc0 .LBB25_185
; %bb.132:
	v_mbcnt_lo_u32_b32 v1, -1, 0
	v_mbcnt_hi_u32_b32 v16, -1, v1
	v_and_b32_e32 v6, 15, v16
	v_mov_b32_e32 v3, v9
	v_mov_b32_dpp v1, v9 row_shr:1 row_mask:0xf bank_mask:0xf
	v_mov_b32_dpp v7, v10 row_shr:1 row_mask:0xf bank_mask:0xf
	v_cmp_ne_u32_e32 vcc, 0, v6
	v_mov_b32_e32 v5, v9
	v_mov_b32_e32 v2, v10
	;; [unrolled: 1-line block ×3, first 2 shown]
	s_and_saveexec_b64 s[2:3], vcc
; %bb.133:
	v_add_co_u32_e32 v5, vcc, v1, v9
	v_addc_co_u32_e64 v2, s[4:5], 0, 0, vcc
	v_add_co_u32_e32 v1, vcc, 0, v5
	v_addc_co_u32_e32 v2, vcc, v7, v2, vcc
	v_mov_b32_e32 v4, v2
	v_mov_b32_e32 v3, v1
; %bb.134:
	s_or_b64 exec, exec, s[2:3]
	v_mov_b32_dpp v1, v5 row_shr:2 row_mask:0xf bank_mask:0xf
	v_mov_b32_dpp v7, v2 row_shr:2 row_mask:0xf bank_mask:0xf
	v_cmp_lt_u32_e32 vcc, 1, v6
	s_and_saveexec_b64 s[2:3], vcc
; %bb.135:
	v_add_co_u32_e32 v5, vcc, v3, v1
	v_addc_co_u32_e32 v2, vcc, 0, v4, vcc
	v_add_co_u32_e32 v1, vcc, 0, v5
	v_addc_co_u32_e32 v2, vcc, v7, v2, vcc
	v_mov_b32_e32 v4, v2
	v_mov_b32_e32 v3, v1
; %bb.136:
	s_or_b64 exec, exec, s[2:3]
	v_mov_b32_dpp v1, v5 row_shr:4 row_mask:0xf bank_mask:0xf
	v_mov_b32_dpp v7, v2 row_shr:4 row_mask:0xf bank_mask:0xf
	v_cmp_lt_u32_e32 vcc, 3, v6
	s_and_saveexec_b64 s[2:3], vcc
; %bb.137:
	v_add_co_u32_e32 v5, vcc, v3, v1
	v_addc_co_u32_e32 v2, vcc, 0, v4, vcc
	;; [unrolled: 13-line block ×3, first 2 shown]
	v_add_co_u32_e32 v1, vcc, 0, v5
	v_addc_co_u32_e32 v2, vcc, v7, v2, vcc
	v_mov_b32_e32 v4, v2
	v_mov_b32_e32 v3, v1
; %bb.140:
	s_or_b64 exec, exec, s[2:3]
	v_and_b32_e32 v7, 16, v16
	v_mov_b32_dpp v1, v5 row_bcast:15 row_mask:0xf bank_mask:0xf
	v_mov_b32_dpp v6, v2 row_bcast:15 row_mask:0xf bank_mask:0xf
	v_cmp_ne_u32_e32 vcc, 0, v7
	s_and_saveexec_b64 s[2:3], vcc
; %bb.141:
	v_add_co_u32_e32 v5, vcc, v3, v1
	v_addc_co_u32_e32 v2, vcc, 0, v4, vcc
	v_add_co_u32_e32 v1, vcc, 0, v5
	v_addc_co_u32_e32 v2, vcc, v6, v2, vcc
	v_mov_b32_e32 v4, v2
	v_mov_b32_e32 v3, v1
; %bb.142:
	s_or_b64 exec, exec, s[2:3]
	v_mov_b32_dpp v7, v5 row_bcast:31 row_mask:0xf bank_mask:0xf
	v_add_co_u32_e64 v7, s[2:3], v3, v7
	v_lshrrev_b32_e32 v6, 6, v0
	v_mov_b32_dpp v1, v2 row_bcast:31 row_mask:0xf bank_mask:0xf
	v_addc_co_u32_e64 v2, s[2:3], 0, v4, s[2:3]
	v_or_b32_e32 v8, 63, v0
	v_cmp_lt_u32_e32 vcc, 31, v16
	v_cmp_eq_u32_e64 s[2:3], v0, v8
	v_lshlrev_b32_e32 v6, 3, v6
	s_and_saveexec_b64 s[4:5], s[2:3]
; %bb.143:
	v_add_co_u32_e64 v8, s[2:3], 0, v7
	v_addc_co_u32_e64 v1, s[2:3], v1, v2, s[2:3]
	v_cndmask_b32_e32 v2, v4, v1, vcc
	v_cndmask_b32_e32 v1, v3, v8, vcc
	ds_write_b64 v6, v[1:2] offset:18432
; %bb.144:
	s_or_b64 exec, exec, s[4:5]
	v_cmp_gt_u32_e64 s[2:3], 4, v0
	s_waitcnt lgkmcnt(0)
	s_barrier
	s_and_saveexec_b64 s[4:5], s[2:3]
	s_cbranch_execz .LBB25_148
; %bb.145:
	v_lshlrev_b32_e32 v3, 3, v0
	ds_read_b64 v[1:2], v3 offset:18432
	v_and_b32_e32 v4, 3, v16
	v_or_b32_e32 v3, 0x4800, v3
	v_cmp_ne_u32_e64 s[2:3], 0, v4
	s_waitcnt lgkmcnt(0)
	v_mov_b32_dpp v12, v1 row_shr:1 row_mask:0xf bank_mask:0xf
	v_mov_b32_dpp v11, v2 row_shr:1 row_mask:0xf bank_mask:0xf
	v_mov_b32_e32 v8, v1
	s_and_saveexec_b64 s[26:27], s[2:3]
; %bb.146:
	v_add_co_u32_e64 v8, s[2:3], v1, v12
	v_addc_co_u32_e64 v2, s[2:3], 0, v2, s[2:3]
	v_add_co_u32_e64 v1, s[2:3], 0, v8
	v_addc_co_u32_e64 v2, s[2:3], v11, v2, s[2:3]
; %bb.147:
	s_or_b64 exec, exec, s[26:27]
	v_mov_b32_dpp v8, v8 row_shr:2 row_mask:0xf bank_mask:0xf
	v_add_co_u32_e64 v8, s[2:3], v1, v8
	v_addc_co_u32_e64 v12, s[2:3], 0, v2, s[2:3]
	v_mov_b32_dpp v11, v2 row_shr:2 row_mask:0xf bank_mask:0xf
	v_add_co_u32_e64 v8, s[2:3], 0, v8
	v_addc_co_u32_e64 v11, s[2:3], v12, v11, s[2:3]
	v_cmp_lt_u32_e64 s[2:3], 1, v4
	v_cndmask_b32_e64 v2, v2, v11, s[2:3]
	v_cndmask_b32_e64 v1, v1, v8, s[2:3]
	ds_write_b64 v3, v[1:2]
.LBB25_148:
	s_or_b64 exec, exec, s[4:5]
	v_cndmask_b32_e32 v1, v5, v7, vcc
	v_cmp_gt_u32_e32 vcc, 64, v0
	v_cmp_lt_u32_e64 s[2:3], 63, v0
	s_waitcnt lgkmcnt(0)
	s_barrier
                                        ; implicit-def: $vgpr11_vgpr12
	s_and_saveexec_b64 s[4:5], s[2:3]
	s_cbranch_execz .LBB25_150
; %bb.149:
	ds_read_b64 v[11:12], v6 offset:18424
	s_waitcnt lgkmcnt(0)
	v_add_u32_e32 v1, v1, v11
.LBB25_150:
	s_or_b64 exec, exec, s[4:5]
	v_subrev_co_u32_e64 v2, s[2:3], 1, v16
	v_and_b32_e32 v3, 64, v16
	v_cmp_lt_i32_e64 s[4:5], v2, v3
	v_cndmask_b32_e64 v2, v2, v16, s[4:5]
	v_lshlrev_b32_e32 v2, 2, v2
	ds_bpermute_b32 v47, v2, v1
	s_and_saveexec_b64 s[4:5], vcc
	s_cbranch_execz .LBB25_190
; %bb.151:
	v_mov_b32_e32 v4, 0
	ds_read_b64 v[1:2], v4 offset:18456
	s_and_saveexec_b64 s[26:27], s[2:3]
	s_cbranch_execz .LBB25_153
; %bb.152:
	s_add_i32 s28, s14, 64
	s_mov_b32 s29, 0
	s_lshl_b64 s[28:29], s[28:29], 4
	s_add_u32 s28, s12, s28
	s_addc_u32 s29, s13, s29
	v_mov_b32_e32 v5, s28
	v_mov_b32_e32 v3, 1
	;; [unrolled: 1-line block ×3, first 2 shown]
	s_waitcnt lgkmcnt(0)
	;;#ASMSTART
	global_store_dwordx4 v[5:6], v[1:4] off	
s_waitcnt vmcnt(0)
	;;#ASMEND
.LBB25_153:
	s_or_b64 exec, exec, s[26:27]
	v_xad_u32 v12, v16, -1, s14
	v_add_u32_e32 v3, 64, v12
	v_lshlrev_b64 v[5:6], 4, v[3:4]
	v_mov_b32_e32 v3, s13
	v_add_co_u32_e32 v13, vcc, s12, v5
	v_addc_co_u32_e32 v14, vcc, v3, v6, vcc
	;;#ASMSTART
	global_load_dwordx4 v[5:8], v[13:14] off glc	
s_waitcnt vmcnt(0)
	;;#ASMEND
	v_cmp_eq_u16_sdwa s[28:29], v7, v4 src0_sel:BYTE_0 src1_sel:DWORD
	s_and_saveexec_b64 s[26:27], s[28:29]
	s_cbranch_execz .LBB25_157
; %bb.154:
	s_mov_b64 s[28:29], 0
	v_mov_b32_e32 v3, 0
.LBB25_155:                             ; =>This Inner Loop Header: Depth=1
	;;#ASMSTART
	global_load_dwordx4 v[5:8], v[13:14] off glc	
s_waitcnt vmcnt(0)
	;;#ASMEND
	v_cmp_ne_u16_sdwa s[30:31], v7, v3 src0_sel:BYTE_0 src1_sel:DWORD
	s_or_b64 s[28:29], s[30:31], s[28:29]
	s_andn2_b64 exec, exec, s[28:29]
	s_cbranch_execnz .LBB25_155
; %bb.156:
	s_or_b64 exec, exec, s[28:29]
.LBB25_157:
	s_or_b64 exec, exec, s[26:27]
	v_and_b32_e32 v48, 63, v16
	v_mov_b32_e32 v3, 2
	v_lshlrev_b64 v[14:15], v16, -1
	v_cmp_ne_u32_e32 vcc, 63, v48
	v_cmp_eq_u16_sdwa s[26:27], v7, v3 src0_sel:BYTE_0 src1_sel:DWORD
	v_addc_co_u32_e32 v8, vcc, 0, v16, vcc
	v_and_b32_e32 v3, s27, v15
	v_lshlrev_b32_e32 v49, 2, v8
	v_or_b32_e32 v3, 0x80000000, v3
	ds_bpermute_b32 v13, v49, v5
	ds_bpermute_b32 v8, v49, v6
	v_and_b32_e32 v4, s26, v14
	v_ffbl_b32_e32 v3, v3
	v_add_u32_e32 v3, 32, v3
	v_ffbl_b32_e32 v4, v4
	v_min_u32_e32 v3, v4, v3
	v_cmp_lt_u32_e32 vcc, v48, v3
	v_mov_b32_e32 v4, v5
	s_and_saveexec_b64 s[26:27], vcc
	s_cbranch_execz .LBB25_159
; %bb.158:
	s_waitcnt lgkmcnt(1)
	v_add_co_u32_e32 v4, vcc, v5, v13
	v_addc_co_u32_e32 v6, vcc, 0, v6, vcc
	v_add_co_u32_e32 v5, vcc, 0, v4
	s_waitcnt lgkmcnt(0)
	v_addc_co_u32_e32 v6, vcc, v8, v6, vcc
.LBB25_159:
	s_or_b64 exec, exec, s[26:27]
	v_cmp_gt_u32_e32 vcc, 62, v48
	s_waitcnt lgkmcnt(0)
	v_cndmask_b32_e64 v8, 0, 2, vcc
	v_add_lshl_u32 v50, v8, v16, 2
	ds_bpermute_b32 v13, v50, v4
	ds_bpermute_b32 v8, v50, v6
	v_add_u32_e32 v51, 2, v48
	v_cmp_le_u32_e32 vcc, v51, v3
	s_and_saveexec_b64 s[26:27], vcc
	s_cbranch_execz .LBB25_161
; %bb.160:
	s_waitcnt lgkmcnt(1)
	v_add_co_u32_e32 v4, vcc, v5, v13
	v_addc_co_u32_e32 v6, vcc, 0, v6, vcc
	v_add_co_u32_e32 v5, vcc, 0, v4
	s_waitcnt lgkmcnt(0)
	v_addc_co_u32_e32 v6, vcc, v8, v6, vcc
.LBB25_161:
	s_or_b64 exec, exec, s[26:27]
	v_cmp_gt_u32_e32 vcc, 60, v48
	s_waitcnt lgkmcnt(0)
	v_cndmask_b32_e64 v8, 0, 4, vcc
	v_add_lshl_u32 v52, v8, v16, 2
	ds_bpermute_b32 v13, v52, v4
	ds_bpermute_b32 v8, v52, v6
	v_add_u32_e32 v53, 4, v48
	v_cmp_le_u32_e32 vcc, v53, v3
	;; [unrolled: 19-line block ×4, first 2 shown]
	s_and_saveexec_b64 s[26:27], vcc
	s_cbranch_execz .LBB25_167
; %bb.166:
	s_waitcnt lgkmcnt(1)
	v_add_co_u32_e32 v4, vcc, v5, v13
	v_addc_co_u32_e32 v6, vcc, 0, v6, vcc
	v_add_co_u32_e32 v5, vcc, 0, v4
	s_waitcnt lgkmcnt(0)
	v_addc_co_u32_e32 v6, vcc, v8, v6, vcc
.LBB25_167:
	s_or_b64 exec, exec, s[26:27]
	s_waitcnt lgkmcnt(0)
	v_mov_b32_e32 v8, 0x80
	v_lshl_or_b32 v58, v16, 2, v8
	ds_bpermute_b32 v4, v58, v4
	ds_bpermute_b32 v8, v58, v6
	v_add_u32_e32 v59, 32, v48
	v_mov_b32_e32 v13, 0
	v_mov_b32_e32 v60, 2
	s_waitcnt lgkmcnt(1)
	v_add_co_u32_e32 v4, vcc, v5, v4
	v_addc_co_u32_e32 v16, vcc, 0, v6, vcc
	v_add_co_u32_e32 v4, vcc, 0, v4
	s_waitcnt lgkmcnt(0)
	v_addc_co_u32_e32 v8, vcc, v16, v8, vcc
	v_cmp_gt_u32_e32 vcc, v59, v3
	v_cndmask_b32_e32 v6, v8, v6, vcc
	v_cndmask_b32_e32 v5, v4, v5, vcc
	s_branch .LBB25_170
.LBB25_168:                             ;   in Loop: Header=BB25_170 Depth=1
	s_or_b64 exec, exec, s[26:27]
	ds_bpermute_b32 v16, v58, v16
	s_waitcnt lgkmcnt(1)
	ds_bpermute_b32 v17, v58, v6
	v_subrev_u32_e32 v12, 64, v12
	s_mov_b64 s[26:27], 0
	s_waitcnt lgkmcnt(1)
	v_add_co_u32_e32 v16, vcc, v5, v16
	v_addc_co_u32_e32 v61, vcc, 0, v6, vcc
	v_add_co_u32_e32 v16, vcc, 0, v16
	s_waitcnt lgkmcnt(0)
	v_addc_co_u32_e32 v17, vcc, v61, v17, vcc
	v_cmp_gt_u32_e32 vcc, v59, v8
	v_cndmask_b32_e32 v5, v16, v5, vcc
	v_cndmask_b32_e32 v6, v17, v6, vcc
	v_add_co_u32_e32 v5, vcc, v5, v3
	v_addc_co_u32_e32 v6, vcc, v6, v4, vcc
.LBB25_169:                             ;   in Loop: Header=BB25_170 Depth=1
	s_and_b64 vcc, exec, s[26:27]
	s_cbranch_vccnz .LBB25_186
.LBB25_170:                             ; =>This Loop Header: Depth=1
                                        ;     Child Loop BB25_173 Depth 2
	v_mov_b32_e32 v3, v5
	v_cmp_ne_u16_sdwa s[26:27], v7, v60 src0_sel:BYTE_0 src1_sel:DWORD
	v_mov_b32_e32 v4, v6
	s_cmp_lg_u64 s[26:27], exec
	s_mov_b64 s[26:27], -1
                                        ; implicit-def: $vgpr5_vgpr6
                                        ; implicit-def: $vgpr7
	s_cbranch_scc1 .LBB25_169
; %bb.171:                              ;   in Loop: Header=BB25_170 Depth=1
	v_lshlrev_b64 v[5:6], 4, v[12:13]
	v_mov_b32_e32 v7, s13
	v_add_co_u32_e32 v16, vcc, s12, v5
	v_addc_co_u32_e32 v17, vcc, v7, v6, vcc
	;;#ASMSTART
	global_load_dwordx4 v[5:8], v[16:17] off glc	
s_waitcnt vmcnt(0)
	;;#ASMEND
	v_cmp_eq_u16_sdwa s[28:29], v7, v13 src0_sel:BYTE_0 src1_sel:DWORD
	s_and_saveexec_b64 s[26:27], s[28:29]
	s_cbranch_execz .LBB25_175
; %bb.172:                              ;   in Loop: Header=BB25_170 Depth=1
	s_mov_b64 s[28:29], 0
.LBB25_173:                             ;   Parent Loop BB25_170 Depth=1
                                        ; =>  This Inner Loop Header: Depth=2
	;;#ASMSTART
	global_load_dwordx4 v[5:8], v[16:17] off glc	
s_waitcnt vmcnt(0)
	;;#ASMEND
	v_cmp_ne_u16_sdwa s[30:31], v7, v13 src0_sel:BYTE_0 src1_sel:DWORD
	s_or_b64 s[28:29], s[30:31], s[28:29]
	s_andn2_b64 exec, exec, s[28:29]
	s_cbranch_execnz .LBB25_173
; %bb.174:                              ;   in Loop: Header=BB25_170 Depth=1
	s_or_b64 exec, exec, s[28:29]
.LBB25_175:                             ;   in Loop: Header=BB25_170 Depth=1
	s_or_b64 exec, exec, s[26:27]
	v_cmp_eq_u16_sdwa s[26:27], v7, v60 src0_sel:BYTE_0 src1_sel:DWORD
	v_and_b32_e32 v8, s27, v15
	v_or_b32_e32 v8, 0x80000000, v8
	ds_bpermute_b32 v61, v49, v5
	ds_bpermute_b32 v17, v49, v6
	v_and_b32_e32 v16, s26, v14
	v_ffbl_b32_e32 v8, v8
	v_add_u32_e32 v8, 32, v8
	v_ffbl_b32_e32 v16, v16
	v_min_u32_e32 v8, v16, v8
	v_cmp_lt_u32_e32 vcc, v48, v8
	v_mov_b32_e32 v16, v5
	s_and_saveexec_b64 s[26:27], vcc
	s_cbranch_execz .LBB25_177
; %bb.176:                              ;   in Loop: Header=BB25_170 Depth=1
	s_waitcnt lgkmcnt(1)
	v_add_co_u32_e32 v16, vcc, v5, v61
	v_addc_co_u32_e32 v6, vcc, 0, v6, vcc
	v_add_co_u32_e32 v5, vcc, 0, v16
	s_waitcnt lgkmcnt(0)
	v_addc_co_u32_e32 v6, vcc, v17, v6, vcc
.LBB25_177:                             ;   in Loop: Header=BB25_170 Depth=1
	s_or_b64 exec, exec, s[26:27]
	s_waitcnt lgkmcnt(1)
	ds_bpermute_b32 v61, v50, v16
	s_waitcnt lgkmcnt(1)
	ds_bpermute_b32 v17, v50, v6
	v_cmp_le_u32_e32 vcc, v51, v8
	s_and_saveexec_b64 s[26:27], vcc
	s_cbranch_execz .LBB25_179
; %bb.178:                              ;   in Loop: Header=BB25_170 Depth=1
	s_waitcnt lgkmcnt(1)
	v_add_co_u32_e32 v16, vcc, v5, v61
	v_addc_co_u32_e32 v6, vcc, 0, v6, vcc
	v_add_co_u32_e32 v5, vcc, 0, v16
	s_waitcnt lgkmcnt(0)
	v_addc_co_u32_e32 v6, vcc, v17, v6, vcc
.LBB25_179:                             ;   in Loop: Header=BB25_170 Depth=1
	s_or_b64 exec, exec, s[26:27]
	s_waitcnt lgkmcnt(1)
	ds_bpermute_b32 v61, v52, v16
	s_waitcnt lgkmcnt(1)
	ds_bpermute_b32 v17, v52, v6
	v_cmp_le_u32_e32 vcc, v53, v8
	;; [unrolled: 16-line block ×4, first 2 shown]
	s_and_saveexec_b64 s[26:27], vcc
	s_cbranch_execz .LBB25_168
; %bb.184:                              ;   in Loop: Header=BB25_170 Depth=1
	s_waitcnt lgkmcnt(1)
	v_add_co_u32_e32 v16, vcc, v5, v61
	v_addc_co_u32_e32 v6, vcc, 0, v6, vcc
	v_add_co_u32_e32 v5, vcc, 0, v16
	s_waitcnt lgkmcnt(0)
	v_addc_co_u32_e32 v6, vcc, v17, v6, vcc
	s_branch .LBB25_168
.LBB25_185:
                                        ; implicit-def: $vgpr1_vgpr2
                                        ; implicit-def: $vgpr5_vgpr6
	s_movk_i32 s4, 0x4820
	s_cbranch_execnz .LBB25_191
	s_branch .LBB25_210
.LBB25_186:
	s_and_saveexec_b64 s[26:27], s[2:3]
	s_cbranch_execz .LBB25_188
; %bb.187:
	s_add_i32 s28, s14, 64
	s_mov_b32 s29, 0
	s_lshl_b64 s[28:29], s[28:29], 4
	s_add_u32 s28, s12, s28
	v_add_co_u32_e32 v5, vcc, v3, v1
	s_addc_u32 s29, s13, s29
	v_mov_b32_e32 v12, s28
	v_addc_co_u32_e32 v6, vcc, v4, v2, vcc
	v_mov_b32_e32 v7, 2
	v_mov_b32_e32 v8, 0
	;; [unrolled: 1-line block ×3, first 2 shown]
	;;#ASMSTART
	global_store_dwordx4 v[12:13], v[5:8] off	
s_waitcnt vmcnt(0)
	;;#ASMEND
	ds_write_b128 v8, v[1:4] offset:18464
.LBB25_188:
	s_or_b64 exec, exec, s[26:27]
	s_and_b64 exec, exec, s[0:1]
; %bb.189:
	v_mov_b32_e32 v1, 0
	ds_write_b64 v1, v[3:4] offset:18456
.LBB25_190:
	s_or_b64 exec, exec, s[4:5]
	v_mov_b32_e32 v1, 0
	s_waitcnt lgkmcnt(0)
	s_barrier
	ds_read_b64 v[3:4], v1 offset:18456
	s_waitcnt lgkmcnt(0)
	s_barrier
	ds_read_b64 v[1:2], v1 offset:18472
	v_cndmask_b32_e64 v5, v47, v11, s[2:3]
	v_cndmask_b32_e64 v4, v5, 0, s[0:1]
	v_add_co_u32_e32 v5, vcc, v3, v4
	s_movk_i32 s4, 0x4820
	s_branch .LBB25_210
.LBB25_191:
	s_waitcnt lgkmcnt(0)
	v_mbcnt_lo_u32_b32 v1, -1, 0
	v_mbcnt_hi_u32_b32 v5, -1, v1
	v_mov_b32_e32 v2, 0
	v_and_b32_e32 v6, 15, v5
	v_mov_b32_e32 v3, v9
	v_mov_b32_dpp v1, v9 row_shr:1 row_mask:0xf bank_mask:0xf
	v_mov_b32_dpp v7, v2 row_shr:1 row_mask:0xf bank_mask:0xf
	v_cmp_ne_u32_e32 vcc, 0, v6
	v_mov_b32_e32 v4, v10
	s_and_saveexec_b64 s[2:3], vcc
; %bb.192:
	v_add_co_u32_e32 v9, vcc, v1, v9
	v_addc_co_u32_e64 v2, s[4:5], 0, 0, vcc
	v_add_co_u32_e32 v1, vcc, 0, v9
	v_addc_co_u32_e32 v2, vcc, v7, v2, vcc
	v_mov_b32_e32 v4, v2
	v_mov_b32_e32 v3, v1
; %bb.193:
	s_or_b64 exec, exec, s[2:3]
	v_mov_b32_dpp v1, v9 row_shr:2 row_mask:0xf bank_mask:0xf
	v_mov_b32_dpp v7, v2 row_shr:2 row_mask:0xf bank_mask:0xf
	v_cmp_lt_u32_e32 vcc, 1, v6
	s_and_saveexec_b64 s[2:3], vcc
; %bb.194:
	v_add_co_u32_e32 v9, vcc, v3, v1
	v_addc_co_u32_e32 v2, vcc, 0, v4, vcc
	v_add_co_u32_e32 v1, vcc, 0, v9
	v_addc_co_u32_e32 v2, vcc, v7, v2, vcc
	v_mov_b32_e32 v4, v2
	v_mov_b32_e32 v3, v1
; %bb.195:
	s_or_b64 exec, exec, s[2:3]
	v_mov_b32_dpp v1, v9 row_shr:4 row_mask:0xf bank_mask:0xf
	v_mov_b32_dpp v7, v2 row_shr:4 row_mask:0xf bank_mask:0xf
	v_cmp_lt_u32_e32 vcc, 3, v6
	s_and_saveexec_b64 s[2:3], vcc
; %bb.196:
	v_add_co_u32_e32 v9, vcc, v3, v1
	v_addc_co_u32_e32 v2, vcc, 0, v4, vcc
	;; [unrolled: 13-line block ×3, first 2 shown]
	v_add_co_u32_e32 v1, vcc, 0, v9
	v_addc_co_u32_e32 v2, vcc, v7, v2, vcc
	v_mov_b32_e32 v4, v2
	v_mov_b32_e32 v3, v1
; %bb.199:
	s_or_b64 exec, exec, s[2:3]
	v_and_b32_e32 v7, 16, v5
	v_mov_b32_dpp v1, v9 row_bcast:15 row_mask:0xf bank_mask:0xf
	v_mov_b32_dpp v6, v2 row_bcast:15 row_mask:0xf bank_mask:0xf
	v_cmp_ne_u32_e32 vcc, 0, v7
	s_and_saveexec_b64 s[2:3], vcc
; %bb.200:
	v_add_co_u32_e32 v9, vcc, v3, v1
	v_addc_co_u32_e32 v2, vcc, 0, v4, vcc
	v_add_co_u32_e32 v1, vcc, 0, v9
	v_addc_co_u32_e32 v2, vcc, v6, v2, vcc
	v_mov_b32_e32 v4, v2
	v_mov_b32_e32 v3, v1
; %bb.201:
	s_or_b64 exec, exec, s[2:3]
	v_mov_b32_dpp v6, v9 row_bcast:31 row_mask:0xf bank_mask:0xf
	v_add_co_u32_e64 v6, s[2:3], v3, v6
	v_mov_b32_dpp v1, v2 row_bcast:31 row_mask:0xf bank_mask:0xf
	v_addc_co_u32_e64 v2, s[2:3], 0, v4, s[2:3]
	v_lshrrev_b32_e32 v7, 6, v0
	v_or_b32_e32 v8, 63, v0
	v_cmp_lt_u32_e32 vcc, 31, v5
	v_cmp_eq_u32_e64 s[2:3], v0, v8
	v_lshlrev_b32_e32 v7, 3, v7
	s_and_saveexec_b64 s[4:5], s[2:3]
; %bb.202:
	v_add_co_u32_e64 v8, s[2:3], 0, v6
	v_addc_co_u32_e64 v1, s[2:3], v1, v2, s[2:3]
	v_cndmask_b32_e32 v2, v4, v1, vcc
	v_cndmask_b32_e32 v1, v3, v8, vcc
	ds_write_b64 v7, v[1:2] offset:18432
; %bb.203:
	s_or_b64 exec, exec, s[4:5]
	v_cmp_gt_u32_e64 s[2:3], 4, v0
	s_waitcnt lgkmcnt(0)
	s_barrier
	s_and_saveexec_b64 s[4:5], s[2:3]
	s_cbranch_execz .LBB25_207
; %bb.204:
	v_lshlrev_b32_e32 v3, 3, v0
	ds_read_b64 v[1:2], v3 offset:18432
	v_and_b32_e32 v4, 3, v5
	v_or_b32_e32 v3, 0x4800, v3
	v_cmp_ne_u32_e64 s[2:3], 0, v4
	s_waitcnt lgkmcnt(0)
	v_mov_b32_dpp v11, v1 row_shr:1 row_mask:0xf bank_mask:0xf
	v_mov_b32_dpp v10, v2 row_shr:1 row_mask:0xf bank_mask:0xf
	v_mov_b32_e32 v8, v1
	s_and_saveexec_b64 s[26:27], s[2:3]
; %bb.205:
	v_add_co_u32_e64 v8, s[2:3], v1, v11
	v_addc_co_u32_e64 v2, s[2:3], 0, v2, s[2:3]
	v_add_co_u32_e64 v1, s[2:3], 0, v8
	v_addc_co_u32_e64 v2, s[2:3], v10, v2, s[2:3]
; %bb.206:
	s_or_b64 exec, exec, s[26:27]
	v_mov_b32_dpp v8, v8 row_shr:2 row_mask:0xf bank_mask:0xf
	v_add_co_u32_e64 v8, s[2:3], v1, v8
	v_addc_co_u32_e64 v11, s[2:3], 0, v2, s[2:3]
	v_mov_b32_dpp v10, v2 row_shr:2 row_mask:0xf bank_mask:0xf
	v_add_co_u32_e64 v8, s[2:3], 0, v8
	v_addc_co_u32_e64 v10, s[2:3], v11, v10, s[2:3]
	v_cmp_lt_u32_e64 s[2:3], 1, v4
	v_cndmask_b32_e64 v2, v2, v10, s[2:3]
	v_cndmask_b32_e64 v1, v1, v8, s[2:3]
	ds_write_b64 v3, v[1:2]
.LBB25_207:
	s_or_b64 exec, exec, s[4:5]
	v_mov_b32_e32 v1, 0
	v_mov_b32_e32 v2, 0
	;; [unrolled: 1-line block ×3, first 2 shown]
	v_cmp_lt_u32_e64 s[2:3], 63, v0
	s_waitcnt lgkmcnt(0)
	s_barrier
	v_mov_b32_e32 v4, 0
	s_and_saveexec_b64 s[4:5], s[2:3]
; %bb.208:
	ds_read_b64 v[3:4], v7 offset:18424
; %bb.209:
	s_or_b64 exec, exec, s[4:5]
	s_waitcnt lgkmcnt(0)
	v_cndmask_b32_e32 v4, v9, v6, vcc
	v_subrev_co_u32_e32 v6, vcc, 1, v5
	v_and_b32_e32 v7, 64, v5
	v_cmp_lt_i32_e64 s[2:3], v6, v7
	v_cndmask_b32_e64 v5, v6, v5, s[2:3]
	v_add_u32_e32 v4, v4, v3
	v_lshlrev_b32_e32 v5, 2, v5
	ds_bpermute_b32 v4, v5, v4
	s_movk_i32 s4, 0x4818
	s_waitcnt lgkmcnt(0)
	v_cndmask_b32_e32 v5, v4, v3, vcc
.LBB25_210:
	v_mov_b32_e32 v3, s4
	ds_read_b64 v[3:4], v3
	s_waitcnt lgkmcnt(1)
	v_sub_u32_e32 v5, v5, v1
	s_waitcnt lgkmcnt(0)
	s_barrier
	s_and_saveexec_b64 s[2:3], s[24:25]
	s_cbranch_execnz .LBB25_256
; %bb.211:
	s_or_b64 exec, exec, s[2:3]
	s_and_saveexec_b64 s[2:3], s[22:23]
	s_cbranch_execnz .LBB25_257
.LBB25_212:
	s_or_b64 exec, exec, s[2:3]
	s_and_saveexec_b64 s[2:3], s[20:21]
	s_cbranch_execnz .LBB25_258
.LBB25_213:
	s_or_b64 exec, exec, s[2:3]
	s_and_saveexec_b64 s[2:3], s[18:19]
	s_cbranch_execnz .LBB25_259
.LBB25_214:
	s_or_b64 exec, exec, s[2:3]
	s_and_saveexec_b64 s[2:3], s[16:17]
	s_cbranch_execnz .LBB25_260
.LBB25_215:
	s_or_b64 exec, exec, s[2:3]
	s_and_saveexec_b64 s[2:3], s[8:9]
.LBB25_216:
	v_lshlrev_b32_e32 v6, 2, v5
	v_add_u32_e32 v5, 1, v5
	ds_write_b32 v6, v30 offset:19456
.LBB25_217:
	s_or_b64 exec, exec, s[2:3]
	v_and_b32_e32 v6, 64, v46
	v_cmp_ne_u32_e32 vcc, 0, v6
	s_and_saveexec_b64 s[2:3], vcc
; %bb.218:
	v_lshlrev_b32_e32 v6, 2, v5
	v_add_u32_e32 v5, 1, v5
	ds_write_b32 v6, v31 offset:19456
; %bb.219:
	s_or_b64 exec, exec, s[2:3]
	v_and_b32_e32 v6, 0x80, v45
	v_cmp_ne_u32_e32 vcc, 0, v6
	s_and_saveexec_b64 s[2:3], vcc
; %bb.220:
	v_lshlrev_b32_e32 v6, 2, v5
	v_add_u32_e32 v5, 1, v5
	ds_write_b32 v6, v32 offset:19456
; %bb.221:
	;; [unrolled: 9-line block ×9, first 2 shown]
	s_or_b64 exec, exec, s[2:3]
	v_and_b32_e32 v6, 0x8000, v41
	v_cmp_ne_u32_e32 vcc, 0, v6
	s_and_saveexec_b64 s[2:3], vcc
; %bb.236:
	v_lshlrev_b32_e32 v5, 2, v5
	ds_write_b32 v5, v40 offset:19456
; %bb.237:
	s_or_b64 exec, exec, s[2:3]
	v_cmp_lt_i32_e32 vcc, v0, v3
	s_waitcnt lgkmcnt(0)
	s_barrier
	s_and_saveexec_b64 s[2:3], vcc
	s_cbranch_execz .LBB25_240
; %bb.238:
	v_lshlrev_b64 v[5:6], 2, v[1:2]
	v_mov_b32_e32 v8, s7
	v_add_co_u32_e32 v5, vcc, s6, v5
	v_addc_co_u32_e32 v6, vcc, v8, v6, vcc
	v_add_co_u32_e32 v5, vcc, v5, v24
	v_or_b32_e32 v7, 0x4c00, v24
	v_addc_co_u32_e32 v6, vcc, 0, v6, vcc
	s_mov_b64 s[4:5], 0
	v_mov_b32_e32 v8, v0
.LBB25_239:                             ; =>This Inner Loop Header: Depth=1
	ds_read_b32 v9, v7
	v_add_u32_e32 v8, 0x100, v8
	v_cmp_ge_i32_e32 vcc, v8, v3
	s_or_b64 s[4:5], vcc, s[4:5]
	v_add_u32_e32 v7, 0x400, v7
	s_waitcnt lgkmcnt(0)
	global_store_dword v[5:6], v9, off
	v_add_co_u32_e32 v5, vcc, 0x400, v5
	v_addc_co_u32_e32 v6, vcc, 0, v6, vcc
	s_andn2_b64 exec, exec, s[4:5]
	s_cbranch_execnz .LBB25_239
.LBB25_240:
	s_or_b64 exec, exec, s[2:3]
	s_and_saveexec_b64 s[2:3], s[0:1]
	s_cbranch_execz .LBB25_242
; %bb.241:
	v_add_co_u32_e32 v1, vcc, v3, v1
	v_mov_b32_e32 v5, 0
	v_addc_co_u32_e32 v2, vcc, v4, v2, vcc
	global_store_dwordx2 v5, v[1:2], s[10:11]
.LBB25_242:
	s_or_b64 exec, exec, s[2:3]
	s_mov_b64 s[0:1], 0
.LBB25_243:
	s_and_b64 vcc, exec, s[0:1]
	s_cbranch_vccz .LBB25_456
; %bb.244:
	v_mov_b32_e32 v1, 0
	v_lshlrev_b32_e32 v4, 2, v0
	v_sub_u32_e32 v6, v0, v18
	v_mov_b32_e32 v7, v1
	v_add_co_u32_e32 v5, vcc, v22, v4
	v_lshlrev_b64 v[6:7], 2, v[6:7]
	v_addc_co_u32_e32 v3, vcc, 0, v23, vcc
	v_add_co_u32_e32 v2, vcc, v20, v6
	v_addc_co_u32_e32 v6, vcc, v21, v7, vcc
	v_cmp_lt_i32_e32 vcc, v0, v18
	v_cndmask_b32_e32 v7, v6, v3, vcc
	v_cndmask_b32_e32 v6, v2, v5, vcc
	v_or_b32_e32 v8, 0x100, v0
	global_load_dword v2, v[6:7], off
	s_movk_i32 s0, 0x400
	v_sub_u32_e32 v6, v8, v18
	v_mov_b32_e32 v7, v1
	v_add_co_u32_e32 v9, vcc, s0, v5
	v_lshlrev_b64 v[6:7], 2, v[6:7]
	v_addc_co_u32_e32 v10, vcc, 0, v3, vcc
	v_add_co_u32_e32 v6, vcc, v20, v6
	v_addc_co_u32_e32 v7, vcc, v21, v7, vcc
	v_cmp_lt_i32_e32 vcc, v8, v18
	v_cndmask_b32_e32 v7, v7, v10, vcc
	v_cndmask_b32_e32 v6, v6, v9, vcc
	v_or_b32_e32 v9, 0x200, v0
	global_load_dword v6, v[6:7], off
	s_movk_i32 s0, 0x800
	;; [unrolled: 13-line block ×3, first 2 shown]
	v_sub_u32_e32 v8, v10, v18
	v_mov_b32_e32 v9, v1
	v_add_co_u32_e32 v11, vcc, s0, v5
	v_lshlrev_b64 v[8:9], 2, v[8:9]
	v_addc_co_u32_e32 v12, vcc, 0, v3, vcc
	v_add_co_u32_e32 v8, vcc, v20, v8
	v_addc_co_u32_e32 v9, vcc, v21, v9, vcc
	v_cmp_lt_i32_e32 vcc, v10, v18
	v_cndmask_b32_e32 v9, v9, v12, vcc
	v_cndmask_b32_e32 v8, v8, v11, vcc
	v_or_b32_e32 v11, 0x400, v0
	global_load_dword v8, v[8:9], off
	v_lshlrev_b32_e32 v9, 2, v11
	v_add_co_u32_e32 v12, vcc, v22, v9
	v_sub_u32_e32 v9, v11, v18
	v_mov_b32_e32 v10, v1
	v_lshlrev_b64 v[9:10], 2, v[9:10]
	v_addc_co_u32_e32 v13, vcc, 0, v23, vcc
	v_add_co_u32_e32 v9, vcc, v20, v9
	v_addc_co_u32_e32 v10, vcc, v21, v10, vcc
	v_cmp_lt_i32_e32 vcc, v11, v18
	v_cndmask_b32_e32 v10, v10, v13, vcc
	v_cndmask_b32_e32 v9, v9, v12, vcc
	v_or_b32_e32 v12, 0x500, v0
	global_load_dword v9, v[9:10], off
	s_movk_i32 s0, 0x1400
	v_sub_u32_e32 v10, v12, v18
	v_mov_b32_e32 v11, v1
	v_add_co_u32_e32 v13, vcc, s0, v5
	v_lshlrev_b64 v[10:11], 2, v[10:11]
	v_addc_co_u32_e32 v14, vcc, 0, v3, vcc
	v_add_co_u32_e32 v10, vcc, v20, v10
	v_addc_co_u32_e32 v11, vcc, v21, v11, vcc
	v_cmp_lt_i32_e32 vcc, v12, v18
	v_cndmask_b32_e32 v11, v11, v14, vcc
	v_cndmask_b32_e32 v10, v10, v13, vcc
	v_or_b32_e32 v13, 0x600, v0
	global_load_dword v10, v[10:11], off
	s_movk_i32 s0, 0x1800
	v_sub_u32_e32 v11, v13, v18
	v_mov_b32_e32 v12, v1
	v_add_co_u32_e32 v14, vcc, s0, v5
	;; [unrolled: 13-line block ×3, first 2 shown]
	v_lshlrev_b64 v[12:13], 2, v[12:13]
	v_addc_co_u32_e32 v16, vcc, 0, v3, vcc
	v_add_co_u32_e32 v12, vcc, v20, v12
	v_addc_co_u32_e32 v13, vcc, v21, v13, vcc
	v_cmp_lt_i32_e32 vcc, v14, v18
	v_cndmask_b32_e32 v13, v13, v16, vcc
	v_cndmask_b32_e32 v12, v12, v15, vcc
	v_or_b32_e32 v15, 0x800, v0
	global_load_dword v12, v[12:13], off
	v_lshlrev_b32_e32 v13, 2, v15
	v_add_co_u32_e32 v16, vcc, v22, v13
	v_sub_u32_e32 v13, v15, v18
	v_mov_b32_e32 v14, v1
	v_lshlrev_b64 v[13:14], 2, v[13:14]
	v_addc_co_u32_e32 v17, vcc, 0, v23, vcc
	v_add_co_u32_e32 v13, vcc, v20, v13
	v_addc_co_u32_e32 v14, vcc, v21, v14, vcc
	v_cmp_lt_i32_e32 vcc, v15, v18
	v_cndmask_b32_e32 v14, v14, v17, vcc
	v_cndmask_b32_e32 v13, v13, v16, vcc
	v_or_b32_e32 v16, 0x900, v0
	global_load_dword v13, v[13:14], off
	s_movk_i32 s0, 0x2400
	v_sub_u32_e32 v14, v16, v18
	v_mov_b32_e32 v15, v1
	v_add_co_u32_e32 v17, vcc, s0, v5
	v_lshlrev_b64 v[14:15], 2, v[14:15]
	v_addc_co_u32_e32 v24, vcc, 0, v3, vcc
	v_add_co_u32_e32 v14, vcc, v20, v14
	v_addc_co_u32_e32 v15, vcc, v21, v15, vcc
	v_cmp_lt_i32_e32 vcc, v16, v18
	v_cndmask_b32_e32 v15, v15, v24, vcc
	v_cndmask_b32_e32 v14, v14, v17, vcc
	v_or_b32_e32 v17, 0xa00, v0
	global_load_dword v14, v[14:15], off
	s_movk_i32 s0, 0x2800
	v_sub_u32_e32 v15, v17, v18
	v_mov_b32_e32 v16, v1
	v_add_co_u32_e32 v24, vcc, s0, v5
	;; [unrolled: 13-line block ×3, first 2 shown]
	v_lshlrev_b64 v[16:17], 2, v[16:17]
	v_addc_co_u32_e32 v26, vcc, 0, v3, vcc
	v_add_co_u32_e32 v16, vcc, v20, v16
	v_addc_co_u32_e32 v17, vcc, v21, v17, vcc
	v_cmp_lt_i32_e32 vcc, v24, v18
	v_cndmask_b32_e32 v17, v17, v26, vcc
	v_cndmask_b32_e32 v16, v16, v25, vcc
	global_load_dword v16, v[16:17], off
	v_or_b32_e32 v17, 0xc00, v0
	v_lshlrev_b32_e32 v24, 2, v17
	v_add_co_u32_e32 v24, vcc, v22, v24
	v_addc_co_u32_e32 v25, vcc, 0, v23, vcc
	v_sub_u32_e32 v22, v17, v18
	v_mov_b32_e32 v23, v1
	v_lshlrev_b64 v[22:23], 2, v[22:23]
	s_movk_i32 s0, 0x3400
	v_add_co_u32_e32 v22, vcc, v20, v22
	v_addc_co_u32_e32 v23, vcc, v21, v23, vcc
	v_cmp_lt_i32_e32 vcc, v17, v18
	v_cndmask_b32_e32 v23, v23, v25, vcc
	v_cndmask_b32_e32 v22, v22, v24, vcc
	v_or_b32_e32 v24, 0xd00, v0
	global_load_dword v17, v[22:23], off
	v_sub_u32_e32 v22, v24, v18
	v_mov_b32_e32 v23, v1
	v_add_co_u32_e32 v25, vcc, s0, v5
	v_lshlrev_b64 v[22:23], 2, v[22:23]
	v_addc_co_u32_e32 v26, vcc, 0, v3, vcc
	v_add_co_u32_e32 v22, vcc, v20, v22
	v_addc_co_u32_e32 v23, vcc, v21, v23, vcc
	v_cmp_lt_i32_e32 vcc, v24, v18
	v_cndmask_b32_e32 v23, v23, v26, vcc
	v_cndmask_b32_e32 v22, v22, v25, vcc
	v_or_b32_e32 v25, 0xe00, v0
	global_load_dword v22, v[22:23], off
	s_movk_i32 s0, 0x3800
	v_sub_u32_e32 v23, v25, v18
	v_mov_b32_e32 v24, v1
	v_add_co_u32_e32 v26, vcc, s0, v5
	v_lshlrev_b64 v[23:24], 2, v[23:24]
	v_addc_co_u32_e32 v27, vcc, 0, v3, vcc
	v_add_co_u32_e32 v23, vcc, v20, v23
	v_addc_co_u32_e32 v24, vcc, v21, v24, vcc
	v_cmp_lt_i32_e32 vcc, v25, v18
	v_cndmask_b32_e32 v24, v24, v27, vcc
	v_cndmask_b32_e32 v23, v23, v26, vcc
	global_load_dword v24, v[23:24], off
	v_or_b32_e32 v25, 0xf00, v0
	v_add_u32_e32 v23, v19, v18
	v_cmp_lt_i32_e32 vcc, v25, v23
	v_mov_b32_e32 v26, 0
	s_and_saveexec_b64 s[0:1], vcc
	s_cbranch_execz .LBB25_246
; %bb.245:
	v_sub_u32_e32 v26, v25, v18
	v_mov_b32_e32 v27, 0
	v_add_co_u32_e32 v5, vcc, 0x3c00, v5
	v_lshlrev_b64 v[26:27], 2, v[26:27]
	v_addc_co_u32_e32 v3, vcc, 0, v3, vcc
	v_add_co_u32_e32 v20, vcc, v20, v26
	v_addc_co_u32_e32 v21, vcc, v21, v27, vcc
	v_cmp_lt_i32_e32 vcc, v25, v18
	v_cndmask_b32_e32 v21, v21, v3, vcc
	v_cndmask_b32_e32 v20, v20, v5, vcc
	global_load_dword v26, v[20:21], off
.LBB25_246:
	s_or_b64 exec, exec, s[0:1]
	s_waitcnt vmcnt(13)
	ds_write2st64_b32 v4, v2, v6 offset0:4 offset1:8
	s_waitcnt vmcnt(11)
	ds_write2st64_b32 v4, v7, v8 offset0:12 offset1:16
	;; [unrolled: 2-line block ×8, first 2 shown]
	v_lshlrev_b32_e32 v2, 4, v0
	v_min_i32_e32 v3, v23, v2
	v_sub_u32_e32 v2, v3, v19
	v_max_i32_e32 v2, 0, v2
	v_min_i32_e32 v6, v18, v3
	v_lshlrev_b32_e32 v5, 2, v18
	v_cmp_lt_i32_e32 vcc, v2, v6
	s_waitcnt lgkmcnt(0)
	s_barrier
	s_and_saveexec_b64 s[0:1], vcc
	s_cbranch_execz .LBB25_250
; %bb.247:
	v_lshl_add_u32 v7, v3, 2, v5
	v_add_u32_e32 v7, 0x400, v7
	s_mov_b64 s[2:3], 0
.LBB25_248:                             ; =>This Inner Loop Header: Depth=1
	v_add_u32_e32 v8, v6, v2
	v_lshrrev_b32_e32 v8, 1, v8
	v_not_b32_e32 v10, v8
	v_lshlrev_b32_e32 v9, 2, v8
	v_lshl_add_u32 v10, v10, 2, v7
	ds_read_b32 v9, v9 offset:1024
	ds_read_b32 v10, v10
	v_add_u32_e32 v11, 1, v8
	s_waitcnt lgkmcnt(0)
	v_cmp_lt_i32_e32 vcc, v10, v9
	v_cndmask_b32_e32 v6, v6, v8, vcc
	v_cndmask_b32_e32 v2, v11, v2, vcc
	v_cmp_ge_i32_e32 vcc, v2, v6
	s_or_b64 s[2:3], vcc, s[2:3]
	s_andn2_b64 exec, exec, s[2:3]
	s_cbranch_execnz .LBB25_248
; %bb.249:
	s_or_b64 exec, exec, s[2:3]
.LBB25_250:
	s_or_b64 exec, exec, s[0:1]
	v_sub_u32_e32 v9, v3, v2
	v_cmp_lt_i32_e32 vcc, v9, v19
	v_mov_b32_e32 v7, 0
	s_and_saveexec_b64 s[2:3], vcc
	s_cbranch_execz .LBB25_285
; %bb.251:
	v_lshl_add_u32 v7, v9, 2, v5
	ds_read_b32 v8, v7 offset:1024
	v_mov_b32_e32 v6, 0
	v_cmp_lt_i32_e32 vcc, 0, v2
	v_mov_b32_e32 v10, 0
	s_and_saveexec_b64 s[0:1], vcc
	s_cbranch_execnz .LBB25_261
; %bb.252:
	s_or_b64 exec, exec, s[0:1]
	v_cmp_lt_i32_e32 vcc, v6, v10
	s_and_saveexec_b64 s[0:1], vcc
	s_cbranch_execnz .LBB25_262
.LBB25_253:
	s_or_b64 exec, exec, s[0:1]
	v_cmp_lt_i32_e32 vcc, v6, v10
	s_and_saveexec_b64 s[0:1], vcc
	s_cbranch_execnz .LBB25_263
.LBB25_254:
	s_or_b64 exec, exec, s[0:1]
	v_cmp_lt_i32_e32 vcc, v6, v10
	s_and_saveexec_b64 s[0:1], vcc
	s_cbranch_execnz .LBB25_264
.LBB25_255:
	s_or_b64 exec, exec, s[0:1]
	v_cmp_lt_i32_e32 vcc, v6, v10
	s_and_saveexec_b64 s[0:1], vcc
	s_cbranch_execnz .LBB25_265
	s_branch .LBB25_268
.LBB25_256:
	v_lshlrev_b32_e32 v6, 2, v5
	v_add_u32_e32 v5, 1, v5
	ds_write_b32 v6, v25 offset:19456
	s_or_b64 exec, exec, s[2:3]
	s_and_saveexec_b64 s[2:3], s[22:23]
	s_cbranch_execz .LBB25_212
.LBB25_257:
	v_lshlrev_b32_e32 v6, 2, v5
	v_add_u32_e32 v5, 1, v5
	ds_write_b32 v6, v26 offset:19456
	s_or_b64 exec, exec, s[2:3]
	s_and_saveexec_b64 s[2:3], s[20:21]
	s_cbranch_execz .LBB25_213
.LBB25_258:
	v_lshlrev_b32_e32 v6, 2, v5
	v_add_u32_e32 v5, 1, v5
	ds_write_b32 v6, v27 offset:19456
	s_or_b64 exec, exec, s[2:3]
	s_and_saveexec_b64 s[2:3], s[18:19]
	s_cbranch_execz .LBB25_214
.LBB25_259:
	v_lshlrev_b32_e32 v6, 2, v5
	v_add_u32_e32 v5, 1, v5
	ds_write_b32 v6, v28 offset:19456
	s_or_b64 exec, exec, s[2:3]
	s_and_saveexec_b64 s[2:3], s[16:17]
	s_cbranch_execz .LBB25_215
.LBB25_260:
	v_lshlrev_b32_e32 v6, 2, v5
	v_add_u32_e32 v5, 1, v5
	ds_write_b32 v6, v29 offset:19456
	s_or_b64 exec, exec, s[2:3]
	s_and_saveexec_b64 s[2:3], s[8:9]
	s_cbranch_execnz .LBB25_216
	s_branch .LBB25_217
.LBB25_261:
	s_movk_i32 s4, 0x1ff
	v_mul_lo_u32 v6, v2, s4
	v_ashrrev_i32_e32 v10, 9, v6
	v_lshlrev_b32_e32 v6, 2, v10
	ds_read_b32 v6, v6 offset:1024
	v_add_u32_e32 v11, 1, v10
	s_waitcnt lgkmcnt(0)
	v_cmp_lt_i32_e32 vcc, v6, v8
	v_cndmask_b32_e32 v6, 0, v11, vcc
	v_cndmask_b32_e32 v10, v10, v2, vcc
	s_or_b64 exec, exec, s[0:1]
	v_cmp_lt_i32_e32 vcc, v6, v10
	s_and_saveexec_b64 s[0:1], vcc
	s_cbranch_execz .LBB25_253
.LBB25_262:
	v_sub_u32_e32 v11, v6, v10
	v_lshl_add_u32 v11, v10, 7, v11
	v_ashrrev_i32_e32 v11, 7, v11
	v_lshlrev_b32_e32 v12, 2, v11
	ds_read_b32 v12, v12 offset:1024
	v_add_u32_e32 v13, 1, v11
	s_waitcnt lgkmcnt(0)
	v_cmp_lt_i32_e32 vcc, v12, v8
	v_cndmask_b32_e32 v6, v6, v13, vcc
	v_cndmask_b32_e32 v10, v11, v10, vcc
	s_or_b64 exec, exec, s[0:1]
	v_cmp_lt_i32_e32 vcc, v6, v10
	s_and_saveexec_b64 s[0:1], vcc
	s_cbranch_execz .LBB25_254
.LBB25_263:
	v_sub_u32_e32 v11, v6, v10
	v_lshl_add_u32 v11, v10, 5, v11
	v_ashrrev_i32_e32 v11, 5, v11
	v_lshlrev_b32_e32 v12, 2, v11
	ds_read_b32 v12, v12 offset:1024
	v_add_u32_e32 v13, 1, v11
	s_waitcnt lgkmcnt(0)
	v_cmp_lt_i32_e32 vcc, v12, v8
	v_cndmask_b32_e32 v6, v6, v13, vcc
	v_cndmask_b32_e32 v10, v11, v10, vcc
	s_or_b64 exec, exec, s[0:1]
	v_cmp_lt_i32_e32 vcc, v6, v10
	s_and_saveexec_b64 s[0:1], vcc
	s_cbranch_execz .LBB25_255
.LBB25_264:
	v_sub_u32_e32 v11, v6, v10
	v_lshl_add_u32 v11, v10, 4, v11
	v_ashrrev_i32_e32 v11, 4, v11
	v_lshlrev_b32_e32 v12, 2, v11
	ds_read_b32 v12, v12 offset:1024
	v_add_u32_e32 v13, 1, v11
	s_waitcnt lgkmcnt(0)
	v_cmp_lt_i32_e32 vcc, v12, v8
	v_cndmask_b32_e32 v6, v6, v13, vcc
	v_cndmask_b32_e32 v10, v11, v10, vcc
	s_or_b64 exec, exec, s[0:1]
	v_cmp_lt_i32_e32 vcc, v6, v10
	s_and_saveexec_b64 s[0:1], vcc
	s_cbranch_execz .LBB25_268
.LBB25_265:
	s_mov_b64 s[4:5], 0
.LBB25_266:                             ; =>This Inner Loop Header: Depth=1
	v_sub_u32_e32 v11, v6, v10
	v_lshl_add_u32 v11, v10, 1, v11
	v_ashrrev_i32_e32 v11, 1, v11
	v_lshlrev_b32_e32 v12, 2, v11
	ds_read_b32 v12, v12 offset:1024
	v_add_u32_e32 v13, 1, v11
	s_waitcnt lgkmcnt(0)
	v_cmp_lt_i32_e32 vcc, v12, v8
	v_cndmask_b32_e32 v6, v6, v13, vcc
	v_cndmask_b32_e32 v10, v11, v10, vcc
	v_cmp_ge_i32_e32 vcc, v6, v10
	s_or_b64 s[4:5], vcc, s[4:5]
	s_andn2_b64 exec, exec, s[4:5]
	s_cbranch_execnz .LBB25_266
; %bb.267:
	s_or_b64 exec, exec, s[4:5]
.LBB25_268:
	s_or_b64 exec, exec, s[0:1]
	v_mov_b32_e32 v10, 0
	v_cmp_lt_i32_e32 vcc, 0, v9
	v_mov_b32_e32 v11, v9
	s_and_saveexec_b64 s[0:1], vcc
	s_cbranch_execnz .LBB25_273
; %bb.269:
	s_or_b64 exec, exec, s[0:1]
	v_cmp_lt_i32_e32 vcc, v10, v11
	s_and_saveexec_b64 s[0:1], vcc
	s_cbranch_execnz .LBB25_274
.LBB25_270:
	s_or_b64 exec, exec, s[0:1]
	v_cmp_lt_i32_e32 vcc, v10, v11
	s_and_saveexec_b64 s[0:1], vcc
	s_cbranch_execnz .LBB25_275
.LBB25_271:
	s_or_b64 exec, exec, s[0:1]
	v_cmp_lt_i32_e32 vcc, v10, v11
	s_and_saveexec_b64 s[0:1], vcc
	s_cbranch_execnz .LBB25_276
.LBB25_272:
	s_or_b64 exec, exec, s[0:1]
	v_cmp_lt_i32_e32 vcc, v10, v11
	s_and_saveexec_b64 s[0:1], vcc
	s_cbranch_execnz .LBB25_277
	s_branch .LBB25_280
.LBB25_273:
	s_movk_i32 s4, 0x1ff
	v_mul_lo_u32 v10, v9, s4
	v_lshrrev_b32_e32 v11, 9, v10
	v_lshl_add_u32 v10, v11, 2, v5
	ds_read_b32 v10, v10 offset:1024
	v_add_u32_e32 v12, 1, v11
	s_waitcnt lgkmcnt(0)
	v_cmp_lt_i32_e32 vcc, v10, v8
	v_cndmask_b32_e32 v10, 0, v12, vcc
	v_cndmask_b32_e32 v11, v11, v9, vcc
	s_or_b64 exec, exec, s[0:1]
	v_cmp_lt_i32_e32 vcc, v10, v11
	s_and_saveexec_b64 s[0:1], vcc
	s_cbranch_execz .LBB25_270
.LBB25_274:
	v_sub_u32_e32 v12, v10, v11
	v_lshl_add_u32 v12, v11, 7, v12
	v_ashrrev_i32_e32 v12, 7, v12
	v_lshl_add_u32 v13, v12, 2, v5
	ds_read_b32 v13, v13 offset:1024
	v_add_u32_e32 v14, 1, v12
	s_waitcnt lgkmcnt(0)
	v_cmp_lt_i32_e32 vcc, v13, v8
	v_cndmask_b32_e32 v10, v10, v14, vcc
	v_cndmask_b32_e32 v11, v12, v11, vcc
	s_or_b64 exec, exec, s[0:1]
	v_cmp_lt_i32_e32 vcc, v10, v11
	s_and_saveexec_b64 s[0:1], vcc
	s_cbranch_execz .LBB25_271
.LBB25_275:
	v_sub_u32_e32 v12, v10, v11
	v_lshl_add_u32 v12, v11, 5, v12
	v_ashrrev_i32_e32 v12, 5, v12
	v_lshl_add_u32 v13, v12, 2, v5
	ds_read_b32 v13, v13 offset:1024
	v_add_u32_e32 v14, 1, v12
	s_waitcnt lgkmcnt(0)
	v_cmp_lt_i32_e32 vcc, v13, v8
	v_cndmask_b32_e32 v10, v10, v14, vcc
	v_cndmask_b32_e32 v11, v12, v11, vcc
	s_or_b64 exec, exec, s[0:1]
	v_cmp_lt_i32_e32 vcc, v10, v11
	s_and_saveexec_b64 s[0:1], vcc
	s_cbranch_execz .LBB25_272
.LBB25_276:
	v_sub_u32_e32 v12, v10, v11
	v_lshl_add_u32 v12, v11, 4, v12
	v_ashrrev_i32_e32 v12, 4, v12
	v_lshl_add_u32 v13, v12, 2, v5
	ds_read_b32 v13, v13 offset:1024
	v_add_u32_e32 v14, 1, v12
	s_waitcnt lgkmcnt(0)
	v_cmp_lt_i32_e32 vcc, v13, v8
	v_cndmask_b32_e32 v10, v10, v14, vcc
	v_cndmask_b32_e32 v11, v12, v11, vcc
	s_or_b64 exec, exec, s[0:1]
	v_cmp_lt_i32_e32 vcc, v10, v11
	s_and_saveexec_b64 s[0:1], vcc
	s_cbranch_execz .LBB25_280
.LBB25_277:
	s_mov_b64 s[4:5], 0
.LBB25_278:                             ; =>This Inner Loop Header: Depth=1
	v_sub_u32_e32 v12, v10, v11
	v_lshl_add_u32 v12, v11, 1, v12
	v_ashrrev_i32_e32 v12, 1, v12
	v_lshl_add_u32 v13, v12, 2, v5
	ds_read_b32 v13, v13 offset:1024
	v_add_u32_e32 v14, 1, v12
	s_waitcnt lgkmcnt(0)
	v_cmp_lt_i32_e32 vcc, v13, v8
	v_cndmask_b32_e32 v10, v10, v14, vcc
	v_cndmask_b32_e32 v11, v12, v11, vcc
	v_cmp_ge_i32_e32 vcc, v10, v11
	s_or_b64 s[4:5], vcc, s[4:5]
	s_andn2_b64 exec, exec, s[4:5]
	s_cbranch_execnz .LBB25_278
; %bb.279:
	s_or_b64 exec, exec, s[4:5]
.LBB25_280:
	s_or_b64 exec, exec, s[0:1]
	v_sub_u32_e32 v2, v2, v6
	v_sub_u32_e32 v12, v9, v10
	v_add_u32_e32 v11, v12, v2
	v_ashrrev_i32_e32 v2, 1, v11
	v_max_i32_e32 v2, v2, v12
	v_add3_u32 v10, v10, v2, 1
	v_min_i32_e32 v10, v10, v19
	v_sub_u32_e32 v10, v10, v9
	v_mov_b32_e32 v9, 0
	v_cmp_lt_i32_e32 vcc, 0, v10
	s_and_saveexec_b64 s[0:1], vcc
	s_cbranch_execz .LBB25_284
; %bb.281:
	v_mov_b32_e32 v9, 0
	s_mov_b64 s[4:5], 0
.LBB25_282:                             ; =>This Inner Loop Header: Depth=1
	v_add_u32_e32 v13, v9, v10
	v_lshrrev_b32_e32 v13, 1, v13
	v_lshl_add_u32 v14, v13, 2, v7
	ds_read_b32 v14, v14 offset:1024
	v_add_u32_e32 v15, 1, v13
	s_waitcnt lgkmcnt(0)
	v_cmp_lt_i32_e32 vcc, v8, v14
	v_cndmask_b32_e32 v9, v15, v9, vcc
	v_cndmask_b32_e32 v10, v10, v13, vcc
	v_cmp_ge_i32_e32 vcc, v9, v10
	s_or_b64 s[4:5], vcc, s[4:5]
	s_andn2_b64 exec, exec, s[4:5]
	s_cbranch_execnz .LBB25_282
; %bb.283:
	s_or_b64 exec, exec, s[4:5]
.LBB25_284:
	s_or_b64 exec, exec, s[0:1]
	v_add_u32_e32 v7, v9, v12
	s_waitcnt lgkmcnt(0)
	v_min_i32_e32 v8, v7, v2
	v_sub_u32_e32 v9, v11, v8
	v_add_u32_e32 v8, 1, v8
	v_cmp_eq_u32_e32 vcc, v9, v8
	v_cmp_lt_i32_e64 s[0:1], v2, v7
	s_and_b64 s[0:1], s[0:1], vcc
	v_cndmask_b32_e64 v7, 0, 1, s[0:1]
	v_add_u32_e32 v2, v9, v6
.LBB25_285:
	s_or_b64 exec, exec, s[2:3]
	v_add_u32_e32 v3, v7, v3
	v_sub_u32_e32 v7, v3, v2
	v_lshlrev_b32_e32 v6, 16, v18
	v_or_b32_e32 v6, v6, v19
	v_lshl_or_b32 v8, v2, 16, v7
	v_subrev_co_u32_e64 v9, s[0:1], 1, v0
	v_cndmask_b32_e64 v6, v8, v6, s[0:1]
	v_mov_b32_e32 v8, 0xff
	v_cndmask_b32_e64 v8, v9, v8, s[0:1]
	v_lshlrev_b32_e32 v8, 2, v8
	ds_write_b32 v8, v6
	s_waitcnt lgkmcnt(0)
	s_barrier
	v_lshlrev_b32_e32 v9, 2, v2
	v_lshl_add_u32 v6, v7, 2, v5
	ds_read_b32 v5, v4
	ds_read_b32 v19, v9 offset:1024
	ds_read_b32 v8, v6 offset:1024
	s_waitcnt lgkmcnt(2)
	v_cmp_le_i32_sdwa s[4:5], v5, v7 src0_sel:WORD_0 src1_sel:DWORD
	v_cmp_le_i32_sdwa s[8:9], sext(v5), v2 src0_sel:WORD_1 src1_sel:DWORD
	s_waitcnt lgkmcnt(0)
	v_cmp_lt_i32_e32 vcc, v8, v19
	v_cndmask_b32_e64 v4, 0, 1, vcc
	v_cndmask_b32_e64 v10, 0, 1, s[8:9]
	s_or_b64 vcc, s[8:9], s[4:5]
	v_cndmask_b32_e32 v4, v4, v10, vcc
	v_and_b32_e32 v4, 1, v4
	v_cmp_eq_u32_e64 s[2:3], 1, v4
	s_xor_b64 s[10:11], s[2:3], -1
	v_mov_b32_e32 v20, v19
	s_and_saveexec_b64 s[2:3], s[10:11]
; %bb.286:
	ds_read_b32 v20, v9 offset:1028
	v_add_u32_e32 v2, 1, v2
; %bb.287:
	s_or_b64 exec, exec, s[2:3]
	s_xor_b64 s[8:9], s[8:9], -1
	v_cmp_lt_i32_e64 s[2:3], v19, v8
	v_add_u32_e32 v4, v7, v18
	v_cndmask_b32_e64 v7, 0, 1, s[2:3]
	s_and_b64 s[2:3], s[4:5], s[8:9]
	v_cndmask_b32_e64 v9, 0, 1, s[2:3]
	v_cndmask_b32_e32 v7, v7, v9, vcc
	v_and_b32_e32 v7, 1, v7
	v_cmp_eq_u32_e32 vcc, 1, v7
	s_xor_b64 s[4:5], vcc, -1
	s_and_saveexec_b64 s[2:3], s[4:5]
; %bb.288:
	ds_read_b32 v8, v6 offset:1028
	v_add_u32_e32 v4, 1, v4
; %bb.289:
	s_or_b64 exec, exec, s[2:3]
	v_add_u32_sdwa v9, v5, v18 dst_sel:DWORD dst_unused:UNUSED_PAD src0_sel:WORD_0 src1_sel:DWORD
	v_cmp_ge_i32_e64 s[2:3], v4, v9
	v_cmp_ge_i32_sdwa s[8:9], v2, sext(v5) src0_sel:DWORD src1_sel:WORD_1
	s_waitcnt lgkmcnt(0)
	v_cmp_lt_i32_e64 s[4:5], v8, v20
	v_cndmask_b32_e64 v6, 0, 1, s[8:9]
	v_cndmask_b32_e64 v7, 0, 1, s[4:5]
	s_or_b64 s[4:5], s[8:9], s[2:3]
	v_cndmask_b32_e64 v6, v7, v6, s[4:5]
	v_and_b32_e32 v6, 1, v6
	v_cmp_eq_u32_e64 s[4:5], 1, v6
	s_xor_b64 s[10:11], s[4:5], -1
	v_mov_b32_e32 v21, v20
	v_mov_b32_e32 v6, v2
	s_and_saveexec_b64 s[4:5], s[10:11]
; %bb.290:
	v_lshlrev_b32_e32 v6, 2, v2
	ds_read_b32 v21, v6 offset:1028
	v_add_u32_e32 v6, 1, v2
; %bb.291:
	s_or_b64 exec, exec, s[4:5]
	v_cmp_lt_i32_e64 s[4:5], v20, v8
	s_or_b64 s[2:3], s[2:3], s[4:5]
	s_xor_b64 s[4:5], s[8:9], -1
	s_and_b64 s[20:21], s[4:5], s[2:3]
	s_xor_b64 s[4:5], s[20:21], -1
	v_mov_b32_e32 v7, v4
	s_and_saveexec_b64 s[2:3], s[4:5]
; %bb.292:
	v_lshlrev_b32_e32 v7, 2, v4
	ds_read_b32 v8, v7 offset:1028
	v_add_u32_e32 v7, 1, v4
; %bb.293:
	s_or_b64 exec, exec, s[2:3]
	v_cmp_ge_i32_e64 s[2:3], v7, v9
	v_cmp_ge_i32_sdwa s[8:9], v6, sext(v5) src0_sel:DWORD src1_sel:WORD_1
	s_waitcnt lgkmcnt(0)
	v_cmp_lt_i32_e64 s[4:5], v8, v21
	v_cndmask_b32_e64 v10, 0, 1, s[8:9]
	v_cndmask_b32_e64 v11, 0, 1, s[4:5]
	s_or_b64 s[4:5], s[8:9], s[2:3]
	v_cndmask_b32_e64 v10, v11, v10, s[4:5]
	v_and_b32_e32 v10, 1, v10
	v_cmp_eq_u32_e64 s[4:5], 1, v10
	s_xor_b64 s[10:11], s[4:5], -1
	v_mov_b32_e32 v22, v21
	v_mov_b32_e32 v10, v6
	s_and_saveexec_b64 s[4:5], s[10:11]
; %bb.294:
	v_lshlrev_b32_e32 v10, 2, v6
	ds_read_b32 v22, v10 offset:1028
	v_add_u32_e32 v10, 1, v6
; %bb.295:
	s_or_b64 exec, exec, s[4:5]
	v_cmp_lt_i32_e64 s[4:5], v21, v8
	s_or_b64 s[2:3], s[2:3], s[4:5]
	s_xor_b64 s[4:5], s[8:9], -1
	s_and_b64 s[18:19], s[4:5], s[2:3]
	s_xor_b64 s[4:5], s[18:19], -1
	v_mov_b32_e32 v11, v7
	s_and_saveexec_b64 s[2:3], s[4:5]
; %bb.296:
	v_lshlrev_b32_e32 v8, 2, v7
	ds_read_b32 v8, v8 offset:1028
	v_add_u32_e32 v11, 1, v7
; %bb.297:
	s_or_b64 exec, exec, s[2:3]
	;; [unrolled: 33-line block ×14, first 2 shown]
	v_cmp_lt_i32_sdwa s[42:43], v51, sext(v5) src0_sel:DWORD src1_sel:WORD_1
	v_cmp_ge_i32_e64 s[2:3], v52, v9
	s_waitcnt lgkmcnt(0)
	v_cmp_lt_i32_e64 s[4:5], v34, v8
	v_add_u32_e32 v8, v52, v51
	v_add_u32_sdwa v5, v9, sext(v5) dst_sel:DWORD dst_unused:UNUSED_PAD src0_sel:DWORD src1_sel:WORD_1
	s_or_b64 s[4:5], s[2:3], s[4:5]
	v_cmp_lt_i32_e64 s[2:3], v8, v5
	s_and_b64 s[2:3], s[42:43], s[2:3]
	v_mov_b32_e32 v8, 0x8000
	s_and_b64 s[2:3], s[2:3], s[4:5]
	v_add_u32_e32 v9, v50, v49
	v_cndmask_b32_e64 v8, 0, v8, s[2:3]
	v_cmp_lt_i32_e64 s[2:3], v9, v5
	v_mov_b32_e32 v9, 0x4000
	s_and_b64 s[2:3], s[2:3], s[40:41]
	v_add_u32_e32 v47, v48, v47
	v_cndmask_b32_e64 v9, 0, v9, s[2:3]
	v_cmp_lt_i32_e64 s[2:3], v47, v5
	;; [unrolled: 5-line block ×9, first 2 shown]
	s_and_b64 s[2:3], s[2:3], s[22:23]
	v_add_u32_e32 v14, v15, v14
	v_cndmask_b32_e64 v16, 0, 64, s[2:3]
	v_cmp_lt_i32_e64 s[2:3], v14, v5
	v_add_u32_e32 v12, v13, v12
	s_and_b64 s[8:9], s[2:3], s[8:9]
	v_cmp_lt_i32_e64 s[2:3], v12, v5
	v_add_u32_e32 v10, v11, v10
	s_and_b64 s[10:11], s[2:3], s[10:11]
	;; [unrolled: 3-line block ×5, first 2 shown]
	v_cmp_lt_i32_e64 s[2:3], v3, v5
	s_and_b64 s[22:23], s[2:3], vcc
	v_cndmask_b32_e64 v6, 0, 4, s[18:19]
	v_cndmask_b32_e64 v2, 0, 2, s[20:21]
	;; [unrolled: 1-line block ×5, first 2 shown]
	v_or3_b32 v2, v2, v3, v6
	v_cndmask_b32_e64 v14, 0, 32, s[8:9]
	v_or3_b32 v2, v2, v10, v12
	v_or3_b32 v40, v2, v14, v16
	v_or_b32_e32 v39, v35, v40
	v_or3_b32 v38, v37, v42, v39
	v_or3_b32 v37, v41, v43, v38
	;; [unrolled: 1-line block ×4, first 2 shown]
	v_bcnt_u32_b32 v10, v35, 0
	v_mov_b32_e32 v11, 0
	s_cmp_lg_u32 s14, 0
	v_mbcnt_lo_u32_b32 v41, -1, 0
	s_barrier
	s_cbranch_scc0 .LBB25_399
; %bb.346:
	v_mbcnt_hi_u32_b32 v17, -1, v41
	v_and_b32_e32 v7, 15, v17
	v_mov_b32_e32 v4, v10
	v_mov_b32_dpp v2, v10 row_shr:1 row_mask:0xf bank_mask:0xf
	v_mov_b32_dpp v8, v11 row_shr:1 row_mask:0xf bank_mask:0xf
	v_cmp_ne_u32_e32 vcc, 0, v7
	v_mov_b32_e32 v6, v10
	v_mov_b32_e32 v3, v11
	;; [unrolled: 1-line block ×3, first 2 shown]
	s_and_saveexec_b64 s[2:3], vcc
; %bb.347:
	v_add_co_u32_e32 v6, vcc, v2, v10
	v_addc_co_u32_e64 v3, s[4:5], 0, 0, vcc
	v_add_co_u32_e32 v2, vcc, 0, v6
	v_addc_co_u32_e32 v3, vcc, v8, v3, vcc
	v_mov_b32_e32 v5, v3
	v_mov_b32_e32 v4, v2
; %bb.348:
	s_or_b64 exec, exec, s[2:3]
	v_mov_b32_dpp v2, v6 row_shr:2 row_mask:0xf bank_mask:0xf
	v_mov_b32_dpp v8, v3 row_shr:2 row_mask:0xf bank_mask:0xf
	v_cmp_lt_u32_e32 vcc, 1, v7
	s_and_saveexec_b64 s[2:3], vcc
; %bb.349:
	v_add_co_u32_e32 v6, vcc, v4, v2
	v_addc_co_u32_e32 v3, vcc, 0, v5, vcc
	v_add_co_u32_e32 v2, vcc, 0, v6
	v_addc_co_u32_e32 v3, vcc, v8, v3, vcc
	v_mov_b32_e32 v5, v3
	v_mov_b32_e32 v4, v2
; %bb.350:
	s_or_b64 exec, exec, s[2:3]
	v_mov_b32_dpp v2, v6 row_shr:4 row_mask:0xf bank_mask:0xf
	v_mov_b32_dpp v8, v3 row_shr:4 row_mask:0xf bank_mask:0xf
	v_cmp_lt_u32_e32 vcc, 3, v7
	s_and_saveexec_b64 s[2:3], vcc
; %bb.351:
	v_add_co_u32_e32 v6, vcc, v4, v2
	v_addc_co_u32_e32 v3, vcc, 0, v5, vcc
	;; [unrolled: 13-line block ×3, first 2 shown]
	v_add_co_u32_e32 v2, vcc, 0, v6
	v_addc_co_u32_e32 v3, vcc, v8, v3, vcc
	v_mov_b32_e32 v5, v3
	v_mov_b32_e32 v4, v2
; %bb.354:
	s_or_b64 exec, exec, s[2:3]
	v_and_b32_e32 v8, 16, v17
	v_mov_b32_dpp v2, v6 row_bcast:15 row_mask:0xf bank_mask:0xf
	v_mov_b32_dpp v7, v3 row_bcast:15 row_mask:0xf bank_mask:0xf
	v_cmp_ne_u32_e32 vcc, 0, v8
	s_and_saveexec_b64 s[2:3], vcc
; %bb.355:
	v_add_co_u32_e32 v6, vcc, v4, v2
	v_addc_co_u32_e32 v3, vcc, 0, v5, vcc
	v_add_co_u32_e32 v2, vcc, 0, v6
	v_addc_co_u32_e32 v3, vcc, v7, v3, vcc
	v_mov_b32_e32 v5, v3
	v_mov_b32_e32 v4, v2
; %bb.356:
	s_or_b64 exec, exec, s[2:3]
	v_mov_b32_dpp v8, v6 row_bcast:31 row_mask:0xf bank_mask:0xf
	v_add_co_u32_e64 v8, s[2:3], v4, v8
	v_mov_b32_dpp v2, v3 row_bcast:31 row_mask:0xf bank_mask:0xf
	v_addc_co_u32_e64 v3, s[2:3], 0, v5, s[2:3]
	v_or_b32_e32 v9, 63, v0
	v_lshrrev_b32_e32 v7, 6, v0
	v_cmp_lt_u32_e32 vcc, 31, v17
	v_cmp_eq_u32_e64 s[2:3], v0, v9
	s_and_saveexec_b64 s[4:5], s[2:3]
	s_cbranch_execz .LBB25_358
; %bb.357:
	v_add_co_u32_e64 v12, s[2:3], 0, v8
	v_addc_co_u32_e64 v2, s[2:3], v2, v3, s[2:3]
	v_lshlrev_b32_e32 v9, 3, v7
	v_cndmask_b32_e32 v3, v5, v2, vcc
	v_cndmask_b32_e32 v2, v4, v12, vcc
	ds_write_b64 v9, v[2:3]
.LBB25_358:
	s_or_b64 exec, exec, s[4:5]
	v_cmp_gt_u32_e64 s[2:3], 4, v0
	s_waitcnt lgkmcnt(0)
	s_barrier
	s_and_saveexec_b64 s[4:5], s[2:3]
	s_cbranch_execz .LBB25_362
; %bb.359:
	v_lshlrev_b32_e32 v4, 3, v0
	ds_read_b64 v[2:3], v4
	v_and_b32_e32 v5, 3, v17
	v_cmp_ne_u32_e64 s[2:3], 0, v5
	s_waitcnt lgkmcnt(0)
	v_mov_b32_dpp v13, v2 row_shr:1 row_mask:0xf bank_mask:0xf
	v_mov_b32_dpp v12, v3 row_shr:1 row_mask:0xf bank_mask:0xf
	v_mov_b32_e32 v9, v2
	s_and_saveexec_b64 s[24:25], s[2:3]
; %bb.360:
	v_add_co_u32_e64 v9, s[2:3], v2, v13
	v_addc_co_u32_e64 v3, s[2:3], 0, v3, s[2:3]
	v_add_co_u32_e64 v2, s[2:3], 0, v9
	v_addc_co_u32_e64 v3, s[2:3], v12, v3, s[2:3]
; %bb.361:
	s_or_b64 exec, exec, s[24:25]
	v_mov_b32_dpp v9, v9 row_shr:2 row_mask:0xf bank_mask:0xf
	v_add_co_u32_e64 v9, s[2:3], v2, v9
	v_addc_co_u32_e64 v13, s[2:3], 0, v3, s[2:3]
	v_mov_b32_dpp v12, v3 row_shr:2 row_mask:0xf bank_mask:0xf
	v_add_co_u32_e64 v9, s[2:3], 0, v9
	v_addc_co_u32_e64 v12, s[2:3], v13, v12, s[2:3]
	v_cmp_lt_u32_e64 s[2:3], 1, v5
	v_cndmask_b32_e64 v3, v3, v12, s[2:3]
	v_cndmask_b32_e64 v2, v2, v9, s[2:3]
	ds_write_b64 v4, v[2:3]
.LBB25_362:
	s_or_b64 exec, exec, s[4:5]
	v_cndmask_b32_e32 v2, v6, v8, vcc
	v_cmp_gt_u32_e32 vcc, 64, v0
	v_cmp_lt_u32_e64 s[2:3], 63, v0
	s_waitcnt lgkmcnt(0)
	s_barrier
                                        ; implicit-def: $vgpr12_vgpr13
	s_and_saveexec_b64 s[4:5], s[2:3]
	s_cbranch_execz .LBB25_364
; %bb.363:
	v_lshl_add_u32 v3, v7, 3, -8
	ds_read_b64 v[12:13], v3
	s_waitcnt lgkmcnt(0)
	v_add_u32_e32 v2, v2, v12
.LBB25_364:
	s_or_b64 exec, exec, s[4:5]
	v_subrev_co_u32_e64 v3, s[2:3], 1, v17
	v_and_b32_e32 v4, 64, v17
	v_cmp_lt_i32_e64 s[4:5], v3, v4
	v_cndmask_b32_e64 v3, v3, v17, s[4:5]
	v_lshlrev_b32_e32 v3, 2, v3
	ds_bpermute_b32 v42, v3, v2
	s_and_saveexec_b64 s[4:5], vcc
	s_cbranch_execz .LBB25_404
; %bb.365:
	v_mov_b32_e32 v5, 0
	ds_read_b64 v[2:3], v5 offset:24
	s_and_saveexec_b64 s[24:25], s[2:3]
	s_cbranch_execz .LBB25_367
; %bb.366:
	s_add_i32 s26, s14, 64
	s_mov_b32 s27, 0
	s_lshl_b64 s[26:27], s[26:27], 4
	s_add_u32 s26, s12, s26
	s_addc_u32 s27, s13, s27
	v_mov_b32_e32 v6, s26
	v_mov_b32_e32 v4, 1
	;; [unrolled: 1-line block ×3, first 2 shown]
	s_waitcnt lgkmcnt(0)
	;;#ASMSTART
	global_store_dwordx4 v[6:7], v[2:5] off	
s_waitcnt vmcnt(0)
	;;#ASMEND
.LBB25_367:
	s_or_b64 exec, exec, s[24:25]
	v_xad_u32 v13, v17, -1, s14
	v_add_u32_e32 v4, 64, v13
	v_lshlrev_b64 v[6:7], 4, v[4:5]
	v_mov_b32_e32 v4, s13
	v_add_co_u32_e32 v14, vcc, s12, v6
	v_addc_co_u32_e32 v15, vcc, v4, v7, vcc
	;;#ASMSTART
	global_load_dwordx4 v[6:9], v[14:15] off glc	
s_waitcnt vmcnt(0)
	;;#ASMEND
	v_cmp_eq_u16_sdwa s[26:27], v8, v5 src0_sel:BYTE_0 src1_sel:DWORD
	s_and_saveexec_b64 s[24:25], s[26:27]
	s_cbranch_execz .LBB25_371
; %bb.368:
	s_mov_b64 s[26:27], 0
	v_mov_b32_e32 v4, 0
.LBB25_369:                             ; =>This Inner Loop Header: Depth=1
	;;#ASMSTART
	global_load_dwordx4 v[6:9], v[14:15] off glc	
s_waitcnt vmcnt(0)
	;;#ASMEND
	v_cmp_ne_u16_sdwa s[28:29], v8, v4 src0_sel:BYTE_0 src1_sel:DWORD
	s_or_b64 s[26:27], s[28:29], s[26:27]
	s_andn2_b64 exec, exec, s[26:27]
	s_cbranch_execnz .LBB25_369
; %bb.370:
	s_or_b64 exec, exec, s[26:27]
.LBB25_371:
	s_or_b64 exec, exec, s[24:25]
	v_and_b32_e32 v43, 63, v17
	v_mov_b32_e32 v4, 2
	v_lshlrev_b64 v[15:16], v17, -1
	v_cmp_ne_u32_e32 vcc, 63, v43
	v_cmp_eq_u16_sdwa s[24:25], v8, v4 src0_sel:BYTE_0 src1_sel:DWORD
	v_addc_co_u32_e32 v9, vcc, 0, v17, vcc
	v_and_b32_e32 v4, s25, v16
	v_lshlrev_b32_e32 v44, 2, v9
	v_or_b32_e32 v4, 0x80000000, v4
	ds_bpermute_b32 v14, v44, v6
	ds_bpermute_b32 v9, v44, v7
	v_and_b32_e32 v5, s24, v15
	v_ffbl_b32_e32 v4, v4
	v_add_u32_e32 v4, 32, v4
	v_ffbl_b32_e32 v5, v5
	v_min_u32_e32 v4, v5, v4
	v_cmp_lt_u32_e32 vcc, v43, v4
	v_mov_b32_e32 v5, v6
	s_and_saveexec_b64 s[24:25], vcc
	s_cbranch_execz .LBB25_373
; %bb.372:
	s_waitcnt lgkmcnt(1)
	v_add_co_u32_e32 v5, vcc, v6, v14
	v_addc_co_u32_e32 v7, vcc, 0, v7, vcc
	v_add_co_u32_e32 v6, vcc, 0, v5
	s_waitcnt lgkmcnt(0)
	v_addc_co_u32_e32 v7, vcc, v9, v7, vcc
.LBB25_373:
	s_or_b64 exec, exec, s[24:25]
	v_cmp_gt_u32_e32 vcc, 62, v43
	s_waitcnt lgkmcnt(0)
	v_cndmask_b32_e64 v9, 0, 2, vcc
	v_add_lshl_u32 v45, v9, v17, 2
	ds_bpermute_b32 v14, v45, v5
	ds_bpermute_b32 v9, v45, v7
	v_add_u32_e32 v46, 2, v43
	v_cmp_le_u32_e32 vcc, v46, v4
	s_and_saveexec_b64 s[24:25], vcc
	s_cbranch_execz .LBB25_375
; %bb.374:
	s_waitcnt lgkmcnt(1)
	v_add_co_u32_e32 v5, vcc, v6, v14
	v_addc_co_u32_e32 v7, vcc, 0, v7, vcc
	v_add_co_u32_e32 v6, vcc, 0, v5
	s_waitcnt lgkmcnt(0)
	v_addc_co_u32_e32 v7, vcc, v9, v7, vcc
.LBB25_375:
	s_or_b64 exec, exec, s[24:25]
	v_cmp_gt_u32_e32 vcc, 60, v43
	s_waitcnt lgkmcnt(0)
	v_cndmask_b32_e64 v9, 0, 4, vcc
	v_add_lshl_u32 v47, v9, v17, 2
	ds_bpermute_b32 v14, v47, v5
	ds_bpermute_b32 v9, v47, v7
	v_add_u32_e32 v48, 4, v43
	v_cmp_le_u32_e32 vcc, v48, v4
	;; [unrolled: 19-line block ×4, first 2 shown]
	s_and_saveexec_b64 s[24:25], vcc
	s_cbranch_execz .LBB25_381
; %bb.380:
	s_waitcnt lgkmcnt(1)
	v_add_co_u32_e32 v5, vcc, v6, v14
	v_addc_co_u32_e32 v7, vcc, 0, v7, vcc
	v_add_co_u32_e32 v6, vcc, 0, v5
	s_waitcnt lgkmcnt(0)
	v_addc_co_u32_e32 v7, vcc, v9, v7, vcc
.LBB25_381:
	s_or_b64 exec, exec, s[24:25]
	s_waitcnt lgkmcnt(0)
	v_mov_b32_e32 v9, 0x80
	v_lshl_or_b32 v53, v17, 2, v9
	ds_bpermute_b32 v5, v53, v5
	ds_bpermute_b32 v9, v53, v7
	v_add_u32_e32 v54, 32, v43
	v_mov_b32_e32 v14, 0
	v_mov_b32_e32 v55, 2
	s_waitcnt lgkmcnt(1)
	v_add_co_u32_e32 v5, vcc, v6, v5
	v_addc_co_u32_e32 v17, vcc, 0, v7, vcc
	v_add_co_u32_e32 v5, vcc, 0, v5
	s_waitcnt lgkmcnt(0)
	v_addc_co_u32_e32 v9, vcc, v17, v9, vcc
	v_cmp_gt_u32_e32 vcc, v54, v4
	v_cndmask_b32_e32 v7, v9, v7, vcc
	v_cndmask_b32_e32 v6, v5, v6, vcc
	s_branch .LBB25_384
.LBB25_382:                             ;   in Loop: Header=BB25_384 Depth=1
	s_or_b64 exec, exec, s[24:25]
	ds_bpermute_b32 v17, v53, v17
	s_waitcnt lgkmcnt(1)
	ds_bpermute_b32 v18, v53, v7
	v_subrev_u32_e32 v13, 64, v13
	s_mov_b64 s[24:25], 0
	s_waitcnt lgkmcnt(1)
	v_add_co_u32_e32 v17, vcc, v6, v17
	v_addc_co_u32_e32 v56, vcc, 0, v7, vcc
	v_add_co_u32_e32 v17, vcc, 0, v17
	s_waitcnt lgkmcnt(0)
	v_addc_co_u32_e32 v18, vcc, v56, v18, vcc
	v_cmp_gt_u32_e32 vcc, v54, v9
	v_cndmask_b32_e32 v6, v17, v6, vcc
	v_cndmask_b32_e32 v7, v18, v7, vcc
	v_add_co_u32_e32 v6, vcc, v6, v4
	v_addc_co_u32_e32 v7, vcc, v7, v5, vcc
.LBB25_383:                             ;   in Loop: Header=BB25_384 Depth=1
	s_and_b64 vcc, exec, s[24:25]
	s_cbranch_vccnz .LBB25_400
.LBB25_384:                             ; =>This Loop Header: Depth=1
                                        ;     Child Loop BB25_387 Depth 2
	v_mov_b32_e32 v4, v6
	v_cmp_ne_u16_sdwa s[24:25], v8, v55 src0_sel:BYTE_0 src1_sel:DWORD
	v_mov_b32_e32 v5, v7
	s_cmp_lg_u64 s[24:25], exec
	s_mov_b64 s[24:25], -1
                                        ; implicit-def: $vgpr6_vgpr7
                                        ; implicit-def: $vgpr8
	s_cbranch_scc1 .LBB25_383
; %bb.385:                              ;   in Loop: Header=BB25_384 Depth=1
	v_lshlrev_b64 v[6:7], 4, v[13:14]
	v_mov_b32_e32 v8, s13
	v_add_co_u32_e32 v17, vcc, s12, v6
	v_addc_co_u32_e32 v18, vcc, v8, v7, vcc
	;;#ASMSTART
	global_load_dwordx4 v[6:9], v[17:18] off glc	
s_waitcnt vmcnt(0)
	;;#ASMEND
	v_cmp_eq_u16_sdwa s[26:27], v8, v14 src0_sel:BYTE_0 src1_sel:DWORD
	s_and_saveexec_b64 s[24:25], s[26:27]
	s_cbranch_execz .LBB25_389
; %bb.386:                              ;   in Loop: Header=BB25_384 Depth=1
	s_mov_b64 s[26:27], 0
.LBB25_387:                             ;   Parent Loop BB25_384 Depth=1
                                        ; =>  This Inner Loop Header: Depth=2
	;;#ASMSTART
	global_load_dwordx4 v[6:9], v[17:18] off glc	
s_waitcnt vmcnt(0)
	;;#ASMEND
	v_cmp_ne_u16_sdwa s[28:29], v8, v14 src0_sel:BYTE_0 src1_sel:DWORD
	s_or_b64 s[26:27], s[28:29], s[26:27]
	s_andn2_b64 exec, exec, s[26:27]
	s_cbranch_execnz .LBB25_387
; %bb.388:                              ;   in Loop: Header=BB25_384 Depth=1
	s_or_b64 exec, exec, s[26:27]
.LBB25_389:                             ;   in Loop: Header=BB25_384 Depth=1
	s_or_b64 exec, exec, s[24:25]
	v_cmp_eq_u16_sdwa s[24:25], v8, v55 src0_sel:BYTE_0 src1_sel:DWORD
	v_and_b32_e32 v9, s25, v16
	v_or_b32_e32 v9, 0x80000000, v9
	ds_bpermute_b32 v56, v44, v6
	ds_bpermute_b32 v18, v44, v7
	v_and_b32_e32 v17, s24, v15
	v_ffbl_b32_e32 v9, v9
	v_add_u32_e32 v9, 32, v9
	v_ffbl_b32_e32 v17, v17
	v_min_u32_e32 v9, v17, v9
	v_cmp_lt_u32_e32 vcc, v43, v9
	v_mov_b32_e32 v17, v6
	s_and_saveexec_b64 s[24:25], vcc
	s_cbranch_execz .LBB25_391
; %bb.390:                              ;   in Loop: Header=BB25_384 Depth=1
	s_waitcnt lgkmcnt(1)
	v_add_co_u32_e32 v17, vcc, v6, v56
	v_addc_co_u32_e32 v7, vcc, 0, v7, vcc
	v_add_co_u32_e32 v6, vcc, 0, v17
	s_waitcnt lgkmcnt(0)
	v_addc_co_u32_e32 v7, vcc, v18, v7, vcc
.LBB25_391:                             ;   in Loop: Header=BB25_384 Depth=1
	s_or_b64 exec, exec, s[24:25]
	s_waitcnt lgkmcnt(1)
	ds_bpermute_b32 v56, v45, v17
	s_waitcnt lgkmcnt(1)
	ds_bpermute_b32 v18, v45, v7
	v_cmp_le_u32_e32 vcc, v46, v9
	s_and_saveexec_b64 s[24:25], vcc
	s_cbranch_execz .LBB25_393
; %bb.392:                              ;   in Loop: Header=BB25_384 Depth=1
	s_waitcnt lgkmcnt(1)
	v_add_co_u32_e32 v17, vcc, v6, v56
	v_addc_co_u32_e32 v7, vcc, 0, v7, vcc
	v_add_co_u32_e32 v6, vcc, 0, v17
	s_waitcnt lgkmcnt(0)
	v_addc_co_u32_e32 v7, vcc, v18, v7, vcc
.LBB25_393:                             ;   in Loop: Header=BB25_384 Depth=1
	s_or_b64 exec, exec, s[24:25]
	s_waitcnt lgkmcnt(1)
	ds_bpermute_b32 v56, v47, v17
	s_waitcnt lgkmcnt(1)
	ds_bpermute_b32 v18, v47, v7
	v_cmp_le_u32_e32 vcc, v48, v9
	;; [unrolled: 16-line block ×4, first 2 shown]
	s_and_saveexec_b64 s[24:25], vcc
	s_cbranch_execz .LBB25_382
; %bb.398:                              ;   in Loop: Header=BB25_384 Depth=1
	s_waitcnt lgkmcnt(1)
	v_add_co_u32_e32 v17, vcc, v6, v56
	v_addc_co_u32_e32 v7, vcc, 0, v7, vcc
	v_add_co_u32_e32 v6, vcc, 0, v17
	s_waitcnt lgkmcnt(0)
	v_addc_co_u32_e32 v7, vcc, v18, v7, vcc
	s_branch .LBB25_382
.LBB25_399:
                                        ; implicit-def: $vgpr4_vgpr5
                                        ; implicit-def: $vgpr6_vgpr7
	s_cbranch_execnz .LBB25_405
	s_branch .LBB25_426
.LBB25_400:
	s_and_saveexec_b64 s[24:25], s[2:3]
	s_cbranch_execz .LBB25_402
; %bb.401:
	s_add_i32 s14, s14, 64
	s_mov_b32 s15, 0
	s_lshl_b64 s[14:15], s[14:15], 4
	s_add_u32 s14, s12, s14
	v_add_co_u32_e32 v6, vcc, v4, v2
	s_addc_u32 s15, s13, s15
	v_mov_b32_e32 v13, s14
	v_addc_co_u32_e32 v7, vcc, v5, v3, vcc
	v_mov_b32_e32 v8, 2
	v_mov_b32_e32 v9, 0
	;; [unrolled: 1-line block ×3, first 2 shown]
	;;#ASMSTART
	global_store_dwordx4 v[13:14], v[6:9] off	
s_waitcnt vmcnt(0)
	;;#ASMEND
	ds_write_b128 v9, v[2:5] offset:32
.LBB25_402:
	s_or_b64 exec, exec, s[24:25]
	s_and_b64 exec, exec, s[0:1]
; %bb.403:
	v_mov_b32_e32 v2, 0
	ds_write_b64 v2, v[4:5] offset:24
.LBB25_404:
	s_or_b64 exec, exec, s[4:5]
	v_mov_b32_e32 v2, 0
	s_waitcnt lgkmcnt(0)
	s_barrier
	ds_read_b64 v[6:7], v2 offset:24
	s_waitcnt lgkmcnt(0)
	s_barrier
	ds_read_b128 v[2:5], v2 offset:32
	v_cndmask_b32_e64 v8, v42, v12, s[2:3]
	s_waitcnt lgkmcnt(0)
	v_cndmask_b32_e64 v3, v8, 0, s[0:1]
	v_add_co_u32_e32 v6, vcc, v6, v3
	s_branch .LBB25_426
.LBB25_405:
	v_mbcnt_hi_u32_b32 v6, -1, v41
	v_mov_b32_e32 v3, 0
	v_and_b32_e32 v7, 15, v6
	v_mov_b32_e32 v4, v10
	v_mov_b32_dpp v2, v10 row_shr:1 row_mask:0xf bank_mask:0xf
	v_mov_b32_dpp v8, v3 row_shr:1 row_mask:0xf bank_mask:0xf
	v_cmp_ne_u32_e32 vcc, 0, v7
	v_mov_b32_e32 v5, v11
	s_and_saveexec_b64 s[2:3], vcc
; %bb.406:
	v_add_co_u32_e32 v10, vcc, v2, v10
	v_addc_co_u32_e64 v3, s[4:5], 0, 0, vcc
	v_add_co_u32_e32 v2, vcc, 0, v10
	v_addc_co_u32_e32 v3, vcc, v8, v3, vcc
	v_mov_b32_e32 v5, v3
	v_mov_b32_e32 v4, v2
; %bb.407:
	s_or_b64 exec, exec, s[2:3]
	v_mov_b32_dpp v2, v10 row_shr:2 row_mask:0xf bank_mask:0xf
	v_mov_b32_dpp v8, v3 row_shr:2 row_mask:0xf bank_mask:0xf
	v_cmp_lt_u32_e32 vcc, 1, v7
	s_and_saveexec_b64 s[2:3], vcc
; %bb.408:
	v_add_co_u32_e32 v10, vcc, v4, v2
	v_addc_co_u32_e32 v3, vcc, 0, v5, vcc
	v_add_co_u32_e32 v2, vcc, 0, v10
	v_addc_co_u32_e32 v3, vcc, v8, v3, vcc
	v_mov_b32_e32 v5, v3
	v_mov_b32_e32 v4, v2
; %bb.409:
	s_or_b64 exec, exec, s[2:3]
	v_mov_b32_dpp v2, v10 row_shr:4 row_mask:0xf bank_mask:0xf
	v_mov_b32_dpp v8, v3 row_shr:4 row_mask:0xf bank_mask:0xf
	v_cmp_lt_u32_e32 vcc, 3, v7
	s_and_saveexec_b64 s[2:3], vcc
; %bb.410:
	v_add_co_u32_e32 v10, vcc, v4, v2
	v_addc_co_u32_e32 v3, vcc, 0, v5, vcc
	;; [unrolled: 13-line block ×3, first 2 shown]
	v_add_co_u32_e32 v2, vcc, 0, v10
	v_addc_co_u32_e32 v3, vcc, v8, v3, vcc
	v_mov_b32_e32 v5, v3
	v_mov_b32_e32 v4, v2
; %bb.413:
	s_or_b64 exec, exec, s[2:3]
	v_and_b32_e32 v8, 16, v6
	v_mov_b32_dpp v2, v10 row_bcast:15 row_mask:0xf bank_mask:0xf
	v_mov_b32_dpp v7, v3 row_bcast:15 row_mask:0xf bank_mask:0xf
	v_cmp_ne_u32_e32 vcc, 0, v8
	s_and_saveexec_b64 s[2:3], vcc
; %bb.414:
	v_add_co_u32_e32 v10, vcc, v4, v2
	v_addc_co_u32_e32 v3, vcc, 0, v5, vcc
	v_add_co_u32_e32 v2, vcc, 0, v10
	v_addc_co_u32_e32 v3, vcc, v7, v3, vcc
	v_mov_b32_e32 v5, v3
	v_mov_b32_e32 v4, v2
; %bb.415:
	s_or_b64 exec, exec, s[2:3]
	v_mov_b32_dpp v7, v10 row_bcast:31 row_mask:0xf bank_mask:0xf
	v_add_co_u32_e64 v7, s[2:3], v4, v7
	v_mov_b32_dpp v2, v3 row_bcast:31 row_mask:0xf bank_mask:0xf
	v_addc_co_u32_e64 v3, s[2:3], 0, v5, s[2:3]
	v_or_b32_e32 v9, 63, v0
	v_cmp_lt_u32_e32 vcc, 31, v6
	v_lshrrev_b32_e32 v8, 6, v0
	v_cmp_eq_u32_e64 s[2:3], v0, v9
	s_and_saveexec_b64 s[4:5], s[2:3]
	s_cbranch_execz .LBB25_417
; %bb.416:
	v_add_co_u32_e64 v11, s[2:3], 0, v7
	v_addc_co_u32_e64 v2, s[2:3], v2, v3, s[2:3]
	v_lshlrev_b32_e32 v9, 3, v8
	v_cndmask_b32_e32 v3, v5, v2, vcc
	v_cndmask_b32_e32 v2, v4, v11, vcc
	ds_write_b64 v9, v[2:3]
.LBB25_417:
	s_or_b64 exec, exec, s[4:5]
	v_cmp_gt_u32_e64 s[2:3], 4, v0
	s_waitcnt lgkmcnt(0)
	s_barrier
	s_and_saveexec_b64 s[4:5], s[2:3]
	s_cbranch_execz .LBB25_421
; %bb.418:
	v_lshlrev_b32_e32 v4, 3, v0
	ds_read_b64 v[2:3], v4
	v_and_b32_e32 v5, 3, v6
	v_cmp_ne_u32_e64 s[2:3], 0, v5
	s_waitcnt lgkmcnt(0)
	v_mov_b32_dpp v12, v2 row_shr:1 row_mask:0xf bank_mask:0xf
	v_mov_b32_dpp v11, v3 row_shr:1 row_mask:0xf bank_mask:0xf
	v_mov_b32_e32 v9, v2
	s_and_saveexec_b64 s[14:15], s[2:3]
; %bb.419:
	v_add_co_u32_e64 v9, s[2:3], v2, v12
	v_addc_co_u32_e64 v3, s[2:3], 0, v3, s[2:3]
	v_add_co_u32_e64 v2, s[2:3], 0, v9
	v_addc_co_u32_e64 v3, s[2:3], v11, v3, s[2:3]
; %bb.420:
	s_or_b64 exec, exec, s[14:15]
	v_mov_b32_dpp v9, v9 row_shr:2 row_mask:0xf bank_mask:0xf
	v_add_co_u32_e64 v9, s[2:3], v2, v9
	v_addc_co_u32_e64 v12, s[2:3], 0, v3, s[2:3]
	v_mov_b32_dpp v11, v3 row_shr:2 row_mask:0xf bank_mask:0xf
	v_add_co_u32_e64 v9, s[2:3], 0, v9
	v_addc_co_u32_e64 v11, s[2:3], v12, v11, s[2:3]
	v_cmp_lt_u32_e64 s[2:3], 1, v5
	v_cndmask_b32_e64 v3, v3, v11, s[2:3]
	v_cndmask_b32_e64 v2, v2, v9, s[2:3]
	ds_write_b64 v4, v[2:3]
.LBB25_421:
	s_or_b64 exec, exec, s[4:5]
	v_mov_b32_e32 v4, 0
	v_cmp_lt_u32_e64 s[2:3], 63, v0
	s_waitcnt lgkmcnt(0)
	s_barrier
	v_mov_b32_e32 v5, 0
	s_and_saveexec_b64 s[4:5], s[2:3]
; %bb.422:
	v_lshl_add_u32 v2, v8, 3, -8
	ds_read_b64 v[4:5], v2
; %bb.423:
	s_or_b64 exec, exec, s[4:5]
	v_cndmask_b32_e32 v2, v10, v7, vcc
	v_subrev_co_u32_e32 v3, vcc, 1, v6
	s_waitcnt lgkmcnt(0)
	v_and_b32_e32 v5, 64, v6
	v_cmp_lt_i32_e64 s[2:3], v3, v5
	v_cndmask_b32_e64 v3, v3, v6, s[2:3]
	v_add_u32_e32 v2, v2, v4
	v_lshlrev_b32_e32 v3, 2, v3
	ds_bpermute_b32 v6, v3, v2
	v_mov_b32_e32 v5, 0
	ds_read_b64 v[2:3], v5 offset:24
	s_waitcnt lgkmcnt(1)
	v_cndmask_b32_e32 v6, v6, v4, vcc
	s_and_saveexec_b64 s[2:3], s[0:1]
	s_cbranch_execz .LBB25_425
; %bb.424:
	s_add_u32 s0, s12, 0x400
	s_addc_u32 s1, s13, 0
	v_mov_b32_e32 v8, s1
	v_mov_b32_e32 v4, 2
	;; [unrolled: 1-line block ×3, first 2 shown]
	s_waitcnt lgkmcnt(0)
	;;#ASMSTART
	global_store_dwordx4 v[7:8], v[2:5] off	
s_waitcnt vmcnt(0)
	;;#ASMEND
.LBB25_425:
	s_or_b64 exec, exec, s[2:3]
	v_mov_b32_e32 v4, 0
	v_mov_b32_e32 v5, 0
.LBB25_426:
	s_waitcnt lgkmcnt(0)
	v_sub_u32_e32 v3, v6, v4
	s_barrier
	s_and_saveexec_b64 s[0:1], s[22:23]
	s_cbranch_execnz .LBB25_457
; %bb.427:
	s_or_b64 exec, exec, s[0:1]
	s_and_saveexec_b64 s[0:1], s[20:21]
	s_cbranch_execnz .LBB25_458
.LBB25_428:
	s_or_b64 exec, exec, s[0:1]
	s_and_saveexec_b64 s[0:1], s[18:19]
	s_cbranch_execnz .LBB25_459
.LBB25_429:
	s_or_b64 exec, exec, s[0:1]
	s_and_saveexec_b64 s[0:1], s[16:17]
	s_cbranch_execnz .LBB25_460
.LBB25_430:
	s_or_b64 exec, exec, s[0:1]
	s_and_saveexec_b64 s[0:1], s[10:11]
	s_cbranch_execnz .LBB25_461
.LBB25_431:
	s_or_b64 exec, exec, s[0:1]
	s_and_saveexec_b64 s[0:1], s[8:9]
.LBB25_432:
	v_lshlrev_b32_e32 v6, 2, v3
	v_add_u32_e32 v3, 1, v3
	ds_write_b32 v6, v24 offset:1024
.LBB25_433:
	s_or_b64 exec, exec, s[0:1]
	v_and_b32_e32 v6, 64, v40
	v_cmp_ne_u32_e32 vcc, 0, v6
	s_and_saveexec_b64 s[0:1], vcc
; %bb.434:
	v_lshlrev_b32_e32 v6, 2, v3
	v_add_u32_e32 v3, 1, v3
	ds_write_b32 v6, v25 offset:1024
; %bb.435:
	s_or_b64 exec, exec, s[0:1]
	v_and_b32_e32 v6, 0x80, v39
	v_cmp_ne_u32_e32 vcc, 0, v6
	s_and_saveexec_b64 s[0:1], vcc
; %bb.436:
	v_lshlrev_b32_e32 v6, 2, v3
	v_add_u32_e32 v3, 1, v3
	ds_write_b32 v6, v26 offset:1024
; %bb.437:
	;; [unrolled: 9-line block ×9, first 2 shown]
	s_or_b64 exec, exec, s[0:1]
	v_and_b32_e32 v6, 0x8000, v35
	v_cmp_ne_u32_e32 vcc, 0, v6
	s_and_saveexec_b64 s[0:1], vcc
; %bb.452:
	v_lshlrev_b32_e32 v3, 2, v3
	ds_write_b32 v3, v34 offset:1024
; %bb.453:
	s_or_b64 exec, exec, s[0:1]
	v_cmp_lt_i32_e32 vcc, v0, v2
	s_waitcnt lgkmcnt(0)
	s_barrier
	s_and_saveexec_b64 s[0:1], vcc
	s_cbranch_execz .LBB25_456
; %bb.454:
	v_mov_b32_e32 v3, 0x400
	v_lshl_or_b32 v6, v0, 2, v3
	v_lshlrev_b64 v[3:4], 2, v[4:5]
	v_lshlrev_b64 v[7:8], 2, v[0:1]
	v_mov_b32_e32 v1, s7
	v_add_co_u32_e32 v3, vcc, s6, v3
	v_addc_co_u32_e32 v1, vcc, v1, v4, vcc
	v_add_co_u32_e32 v3, vcc, v3, v7
	v_addc_co_u32_e32 v4, vcc, v1, v8, vcc
	s_mov_b64 s[0:1], 0
.LBB25_455:                             ; =>This Inner Loop Header: Depth=1
	ds_read_b32 v1, v6
	v_add_u32_e32 v0, 0x100, v0
	v_cmp_ge_i32_e32 vcc, v0, v2
	s_or_b64 s[0:1], vcc, s[0:1]
	v_add_u32_e32 v6, 0x400, v6
	s_waitcnt lgkmcnt(0)
	global_store_dword v[3:4], v1, off
	v_add_co_u32_e32 v3, vcc, 0x400, v3
	v_addc_co_u32_e32 v4, vcc, 0, v4, vcc
	s_andn2_b64 exec, exec, s[0:1]
	s_cbranch_execnz .LBB25_455
.LBB25_456:
	s_endpgm
.LBB25_457:
	v_lshlrev_b32_e32 v6, 2, v3
	v_add_u32_e32 v3, 1, v3
	ds_write_b32 v6, v19 offset:1024
	s_or_b64 exec, exec, s[0:1]
	s_and_saveexec_b64 s[0:1], s[20:21]
	s_cbranch_execz .LBB25_428
.LBB25_458:
	v_lshlrev_b32_e32 v6, 2, v3
	v_add_u32_e32 v3, 1, v3
	ds_write_b32 v6, v20 offset:1024
	s_or_b64 exec, exec, s[0:1]
	s_and_saveexec_b64 s[0:1], s[18:19]
	s_cbranch_execz .LBB25_429
.LBB25_459:
	v_lshlrev_b32_e32 v6, 2, v3
	v_add_u32_e32 v3, 1, v3
	ds_write_b32 v6, v21 offset:1024
	s_or_b64 exec, exec, s[0:1]
	s_and_saveexec_b64 s[0:1], s[16:17]
	s_cbranch_execz .LBB25_430
.LBB25_460:
	v_lshlrev_b32_e32 v6, 2, v3
	v_add_u32_e32 v3, 1, v3
	ds_write_b32 v6, v22 offset:1024
	s_or_b64 exec, exec, s[0:1]
	s_and_saveexec_b64 s[0:1], s[10:11]
	s_cbranch_execz .LBB25_431
.LBB25_461:
	v_lshlrev_b32_e32 v6, 2, v3
	v_add_u32_e32 v3, 1, v3
	ds_write_b32 v6, v23 offset:1024
	s_or_b64 exec, exec, s[0:1]
	s_and_saveexec_b64 s[0:1], s[8:9]
	s_cbranch_execnz .LBB25_432
	s_branch .LBB25_433
	.section	.rodata,"a",@progbits
	.p2align	6, 0x0
	.amdhsa_kernel _ZN6thrust23THRUST_200600_302600_NS11hip_rocprim16__set_operations22lookback_set_op_kernelIN7rocprim17ROCPRIM_400000_NS13kernel_configILj256ELj16ELj4294967295EEELb0ENS0_6detail15normal_iteratorINS0_10device_ptrIKiEEEESD_PiSE_lNS9_INSA_IiEEEESE_NS0_4lessIiEENS2_21serial_set_differenceENS5_6detail19lookback_scan_stateIlLb0ELb1EEEEEvT1_T2_T3_T4_T6_T7_T8_T9_PNS0_4pairIT5_SW_EEPSW_T10_NSK_16ordered_block_idIjEE
		.amdhsa_group_segment_fixed_size 36868
		.amdhsa_private_segment_fixed_size 0
		.amdhsa_kernarg_size 344
		.amdhsa_user_sgpr_count 6
		.amdhsa_user_sgpr_private_segment_buffer 1
		.amdhsa_user_sgpr_dispatch_ptr 0
		.amdhsa_user_sgpr_queue_ptr 0
		.amdhsa_user_sgpr_kernarg_segment_ptr 1
		.amdhsa_user_sgpr_dispatch_id 0
		.amdhsa_user_sgpr_flat_scratch_init 0
		.amdhsa_user_sgpr_private_segment_size 0
		.amdhsa_uses_dynamic_stack 0
		.amdhsa_system_sgpr_private_segment_wavefront_offset 0
		.amdhsa_system_sgpr_workgroup_id_x 1
		.amdhsa_system_sgpr_workgroup_id_y 0
		.amdhsa_system_sgpr_workgroup_id_z 0
		.amdhsa_system_sgpr_workgroup_info 0
		.amdhsa_system_vgpr_workitem_id 2
		.amdhsa_next_free_vgpr 129
		.amdhsa_next_free_sgpr 98
		.amdhsa_reserve_vcc 1
		.amdhsa_reserve_flat_scratch 0
		.amdhsa_float_round_mode_32 0
		.amdhsa_float_round_mode_16_64 0
		.amdhsa_float_denorm_mode_32 3
		.amdhsa_float_denorm_mode_16_64 3
		.amdhsa_dx10_clamp 1
		.amdhsa_ieee_mode 1
		.amdhsa_fp16_overflow 0
		.amdhsa_exception_fp_ieee_invalid_op 0
		.amdhsa_exception_fp_denorm_src 0
		.amdhsa_exception_fp_ieee_div_zero 0
		.amdhsa_exception_fp_ieee_overflow 0
		.amdhsa_exception_fp_ieee_underflow 0
		.amdhsa_exception_fp_ieee_inexact 0
		.amdhsa_exception_int_div_zero 0
	.end_amdhsa_kernel
	.section	.text._ZN6thrust23THRUST_200600_302600_NS11hip_rocprim16__set_operations22lookback_set_op_kernelIN7rocprim17ROCPRIM_400000_NS13kernel_configILj256ELj16ELj4294967295EEELb0ENS0_6detail15normal_iteratorINS0_10device_ptrIKiEEEESD_PiSE_lNS9_INSA_IiEEEESE_NS0_4lessIiEENS2_21serial_set_differenceENS5_6detail19lookback_scan_stateIlLb0ELb1EEEEEvT1_T2_T3_T4_T6_T7_T8_T9_PNS0_4pairIT5_SW_EEPSW_T10_NSK_16ordered_block_idIjEE,"axG",@progbits,_ZN6thrust23THRUST_200600_302600_NS11hip_rocprim16__set_operations22lookback_set_op_kernelIN7rocprim17ROCPRIM_400000_NS13kernel_configILj256ELj16ELj4294967295EEELb0ENS0_6detail15normal_iteratorINS0_10device_ptrIKiEEEESD_PiSE_lNS9_INSA_IiEEEESE_NS0_4lessIiEENS2_21serial_set_differenceENS5_6detail19lookback_scan_stateIlLb0ELb1EEEEEvT1_T2_T3_T4_T6_T7_T8_T9_PNS0_4pairIT5_SW_EEPSW_T10_NSK_16ordered_block_idIjEE,comdat
.Lfunc_end25:
	.size	_ZN6thrust23THRUST_200600_302600_NS11hip_rocprim16__set_operations22lookback_set_op_kernelIN7rocprim17ROCPRIM_400000_NS13kernel_configILj256ELj16ELj4294967295EEELb0ENS0_6detail15normal_iteratorINS0_10device_ptrIKiEEEESD_PiSE_lNS9_INSA_IiEEEESE_NS0_4lessIiEENS2_21serial_set_differenceENS5_6detail19lookback_scan_stateIlLb0ELb1EEEEEvT1_T2_T3_T4_T6_T7_T8_T9_PNS0_4pairIT5_SW_EEPSW_T10_NSK_16ordered_block_idIjEE, .Lfunc_end25-_ZN6thrust23THRUST_200600_302600_NS11hip_rocprim16__set_operations22lookback_set_op_kernelIN7rocprim17ROCPRIM_400000_NS13kernel_configILj256ELj16ELj4294967295EEELb0ENS0_6detail15normal_iteratorINS0_10device_ptrIKiEEEESD_PiSE_lNS9_INSA_IiEEEESE_NS0_4lessIiEENS2_21serial_set_differenceENS5_6detail19lookback_scan_stateIlLb0ELb1EEEEEvT1_T2_T3_T4_T6_T7_T8_T9_PNS0_4pairIT5_SW_EEPSW_T10_NSK_16ordered_block_idIjEE
                                        ; -- End function
	.set _ZN6thrust23THRUST_200600_302600_NS11hip_rocprim16__set_operations22lookback_set_op_kernelIN7rocprim17ROCPRIM_400000_NS13kernel_configILj256ELj16ELj4294967295EEELb0ENS0_6detail15normal_iteratorINS0_10device_ptrIKiEEEESD_PiSE_lNS9_INSA_IiEEEESE_NS0_4lessIiEENS2_21serial_set_differenceENS5_6detail19lookback_scan_stateIlLb0ELb1EEEEEvT1_T2_T3_T4_T6_T7_T8_T9_PNS0_4pairIT5_SW_EEPSW_T10_NSK_16ordered_block_idIjEE.num_vgpr, 62
	.set _ZN6thrust23THRUST_200600_302600_NS11hip_rocprim16__set_operations22lookback_set_op_kernelIN7rocprim17ROCPRIM_400000_NS13kernel_configILj256ELj16ELj4294967295EEELb0ENS0_6detail15normal_iteratorINS0_10device_ptrIKiEEEESD_PiSE_lNS9_INSA_IiEEEESE_NS0_4lessIiEENS2_21serial_set_differenceENS5_6detail19lookback_scan_stateIlLb0ELb1EEEEEvT1_T2_T3_T4_T6_T7_T8_T9_PNS0_4pairIT5_SW_EEPSW_T10_NSK_16ordered_block_idIjEE.num_agpr, 0
	.set _ZN6thrust23THRUST_200600_302600_NS11hip_rocprim16__set_operations22lookback_set_op_kernelIN7rocprim17ROCPRIM_400000_NS13kernel_configILj256ELj16ELj4294967295EEELb0ENS0_6detail15normal_iteratorINS0_10device_ptrIKiEEEESD_PiSE_lNS9_INSA_IiEEEESE_NS0_4lessIiEENS2_21serial_set_differenceENS5_6detail19lookback_scan_stateIlLb0ELb1EEEEEvT1_T2_T3_T4_T6_T7_T8_T9_PNS0_4pairIT5_SW_EEPSW_T10_NSK_16ordered_block_idIjEE.numbered_sgpr, 46
	.set _ZN6thrust23THRUST_200600_302600_NS11hip_rocprim16__set_operations22lookback_set_op_kernelIN7rocprim17ROCPRIM_400000_NS13kernel_configILj256ELj16ELj4294967295EEELb0ENS0_6detail15normal_iteratorINS0_10device_ptrIKiEEEESD_PiSE_lNS9_INSA_IiEEEESE_NS0_4lessIiEENS2_21serial_set_differenceENS5_6detail19lookback_scan_stateIlLb0ELb1EEEEEvT1_T2_T3_T4_T6_T7_T8_T9_PNS0_4pairIT5_SW_EEPSW_T10_NSK_16ordered_block_idIjEE.num_named_barrier, 0
	.set _ZN6thrust23THRUST_200600_302600_NS11hip_rocprim16__set_operations22lookback_set_op_kernelIN7rocprim17ROCPRIM_400000_NS13kernel_configILj256ELj16ELj4294967295EEELb0ENS0_6detail15normal_iteratorINS0_10device_ptrIKiEEEESD_PiSE_lNS9_INSA_IiEEEESE_NS0_4lessIiEENS2_21serial_set_differenceENS5_6detail19lookback_scan_stateIlLb0ELb1EEEEEvT1_T2_T3_T4_T6_T7_T8_T9_PNS0_4pairIT5_SW_EEPSW_T10_NSK_16ordered_block_idIjEE.private_seg_size, 0
	.set _ZN6thrust23THRUST_200600_302600_NS11hip_rocprim16__set_operations22lookback_set_op_kernelIN7rocprim17ROCPRIM_400000_NS13kernel_configILj256ELj16ELj4294967295EEELb0ENS0_6detail15normal_iteratorINS0_10device_ptrIKiEEEESD_PiSE_lNS9_INSA_IiEEEESE_NS0_4lessIiEENS2_21serial_set_differenceENS5_6detail19lookback_scan_stateIlLb0ELb1EEEEEvT1_T2_T3_T4_T6_T7_T8_T9_PNS0_4pairIT5_SW_EEPSW_T10_NSK_16ordered_block_idIjEE.uses_vcc, 1
	.set _ZN6thrust23THRUST_200600_302600_NS11hip_rocprim16__set_operations22lookback_set_op_kernelIN7rocprim17ROCPRIM_400000_NS13kernel_configILj256ELj16ELj4294967295EEELb0ENS0_6detail15normal_iteratorINS0_10device_ptrIKiEEEESD_PiSE_lNS9_INSA_IiEEEESE_NS0_4lessIiEENS2_21serial_set_differenceENS5_6detail19lookback_scan_stateIlLb0ELb1EEEEEvT1_T2_T3_T4_T6_T7_T8_T9_PNS0_4pairIT5_SW_EEPSW_T10_NSK_16ordered_block_idIjEE.uses_flat_scratch, 0
	.set _ZN6thrust23THRUST_200600_302600_NS11hip_rocprim16__set_operations22lookback_set_op_kernelIN7rocprim17ROCPRIM_400000_NS13kernel_configILj256ELj16ELj4294967295EEELb0ENS0_6detail15normal_iteratorINS0_10device_ptrIKiEEEESD_PiSE_lNS9_INSA_IiEEEESE_NS0_4lessIiEENS2_21serial_set_differenceENS5_6detail19lookback_scan_stateIlLb0ELb1EEEEEvT1_T2_T3_T4_T6_T7_T8_T9_PNS0_4pairIT5_SW_EEPSW_T10_NSK_16ordered_block_idIjEE.has_dyn_sized_stack, 0
	.set _ZN6thrust23THRUST_200600_302600_NS11hip_rocprim16__set_operations22lookback_set_op_kernelIN7rocprim17ROCPRIM_400000_NS13kernel_configILj256ELj16ELj4294967295EEELb0ENS0_6detail15normal_iteratorINS0_10device_ptrIKiEEEESD_PiSE_lNS9_INSA_IiEEEESE_NS0_4lessIiEENS2_21serial_set_differenceENS5_6detail19lookback_scan_stateIlLb0ELb1EEEEEvT1_T2_T3_T4_T6_T7_T8_T9_PNS0_4pairIT5_SW_EEPSW_T10_NSK_16ordered_block_idIjEE.has_recursion, 0
	.set _ZN6thrust23THRUST_200600_302600_NS11hip_rocprim16__set_operations22lookback_set_op_kernelIN7rocprim17ROCPRIM_400000_NS13kernel_configILj256ELj16ELj4294967295EEELb0ENS0_6detail15normal_iteratorINS0_10device_ptrIKiEEEESD_PiSE_lNS9_INSA_IiEEEESE_NS0_4lessIiEENS2_21serial_set_differenceENS5_6detail19lookback_scan_stateIlLb0ELb1EEEEEvT1_T2_T3_T4_T6_T7_T8_T9_PNS0_4pairIT5_SW_EEPSW_T10_NSK_16ordered_block_idIjEE.has_indirect_call, 0
	.section	.AMDGPU.csdata,"",@progbits
; Kernel info:
; codeLenInByte = 18928
; TotalNumSgprs: 50
; NumVgprs: 62
; ScratchSize: 0
; MemoryBound: 0
; FloatMode: 240
; IeeeMode: 1
; LDSByteSize: 36868 bytes/workgroup (compile time only)
; SGPRBlocks: 12
; VGPRBlocks: 32
; NumSGPRsForWavesPerEU: 102
; NumVGPRsForWavesPerEU: 129
; Occupancy: 1
; WaveLimiterHint : 1
; COMPUTE_PGM_RSRC2:SCRATCH_EN: 0
; COMPUTE_PGM_RSRC2:USER_SGPR: 6
; COMPUTE_PGM_RSRC2:TRAP_HANDLER: 0
; COMPUTE_PGM_RSRC2:TGID_X_EN: 1
; COMPUTE_PGM_RSRC2:TGID_Y_EN: 0
; COMPUTE_PGM_RSRC2:TGID_Z_EN: 0
; COMPUTE_PGM_RSRC2:TIDIG_COMP_CNT: 2
	.section	.text._ZN6thrust23THRUST_200600_302600_NS11hip_rocprim14__parallel_for6kernelILj256EZNS1_16__set_operations9doit_stepILb0ENS0_6detail15normal_iteratorINS0_10device_ptrIKiEEEESB_PiSC_lNS7_INS8_IiEEEESC_NS0_4lessIiEENS4_31serial_set_symmetric_differenceEEE10hipError_tPvRmT0_T1_T2_T3_T4_SP_T5_T6_PSP_T7_T8_P12ihipStream_tbEUllE_jLj1EEEvSL_SM_SM_,"axG",@progbits,_ZN6thrust23THRUST_200600_302600_NS11hip_rocprim14__parallel_for6kernelILj256EZNS1_16__set_operations9doit_stepILb0ENS0_6detail15normal_iteratorINS0_10device_ptrIKiEEEESB_PiSC_lNS7_INS8_IiEEEESC_NS0_4lessIiEENS4_31serial_set_symmetric_differenceEEE10hipError_tPvRmT0_T1_T2_T3_T4_SP_T5_T6_PSP_T7_T8_P12ihipStream_tbEUllE_jLj1EEEvSL_SM_SM_,comdat
	.protected	_ZN6thrust23THRUST_200600_302600_NS11hip_rocprim14__parallel_for6kernelILj256EZNS1_16__set_operations9doit_stepILb0ENS0_6detail15normal_iteratorINS0_10device_ptrIKiEEEESB_PiSC_lNS7_INS8_IiEEEESC_NS0_4lessIiEENS4_31serial_set_symmetric_differenceEEE10hipError_tPvRmT0_T1_T2_T3_T4_SP_T5_T6_PSP_T7_T8_P12ihipStream_tbEUllE_jLj1EEEvSL_SM_SM_ ; -- Begin function _ZN6thrust23THRUST_200600_302600_NS11hip_rocprim14__parallel_for6kernelILj256EZNS1_16__set_operations9doit_stepILb0ENS0_6detail15normal_iteratorINS0_10device_ptrIKiEEEESB_PiSC_lNS7_INS8_IiEEEESC_NS0_4lessIiEENS4_31serial_set_symmetric_differenceEEE10hipError_tPvRmT0_T1_T2_T3_T4_SP_T5_T6_PSP_T7_T8_P12ihipStream_tbEUllE_jLj1EEEvSL_SM_SM_
	.globl	_ZN6thrust23THRUST_200600_302600_NS11hip_rocprim14__parallel_for6kernelILj256EZNS1_16__set_operations9doit_stepILb0ENS0_6detail15normal_iteratorINS0_10device_ptrIKiEEEESB_PiSC_lNS7_INS8_IiEEEESC_NS0_4lessIiEENS4_31serial_set_symmetric_differenceEEE10hipError_tPvRmT0_T1_T2_T3_T4_SP_T5_T6_PSP_T7_T8_P12ihipStream_tbEUllE_jLj1EEEvSL_SM_SM_
	.p2align	8
	.type	_ZN6thrust23THRUST_200600_302600_NS11hip_rocprim14__parallel_for6kernelILj256EZNS1_16__set_operations9doit_stepILb0ENS0_6detail15normal_iteratorINS0_10device_ptrIKiEEEESB_PiSC_lNS7_INS8_IiEEEESC_NS0_4lessIiEENS4_31serial_set_symmetric_differenceEEE10hipError_tPvRmT0_T1_T2_T3_T4_SP_T5_T6_PSP_T7_T8_P12ihipStream_tbEUllE_jLj1EEEvSL_SM_SM_,@function
_ZN6thrust23THRUST_200600_302600_NS11hip_rocprim14__parallel_for6kernelILj256EZNS1_16__set_operations9doit_stepILb0ENS0_6detail15normal_iteratorINS0_10device_ptrIKiEEEESB_PiSC_lNS7_INS8_IiEEEESC_NS0_4lessIiEENS4_31serial_set_symmetric_differenceEEE10hipError_tPvRmT0_T1_T2_T3_T4_SP_T5_T6_PSP_T7_T8_P12ihipStream_tbEUllE_jLj1EEEvSL_SM_SM_: ; @_ZN6thrust23THRUST_200600_302600_NS11hip_rocprim14__parallel_for6kernelILj256EZNS1_16__set_operations9doit_stepILb0ENS0_6detail15normal_iteratorINS0_10device_ptrIKiEEEESB_PiSC_lNS7_INS8_IiEEEESC_NS0_4lessIiEENS4_31serial_set_symmetric_differenceEEE10hipError_tPvRmT0_T1_T2_T3_T4_SP_T5_T6_PSP_T7_T8_P12ihipStream_tbEUllE_jLj1EEEvSL_SM_SM_
; %bb.0:
	s_load_dwordx2 s[0:1], s[4:5], 0x30
	s_load_dwordx2 s[2:3], s[4:5], 0x20
	s_load_dwordx8 s[8:15], s[4:5], 0x0
	s_lshl_b32 s4, s6, 8
	s_waitcnt lgkmcnt(0)
	s_add_i32 s18, s1, s4
	s_sub_i32 s4, s0, s18
	s_cmpk_gt_u32 s4, 0xff
	s_mov_b64 s[0:1], -1
	s_cbranch_scc0 .LBB26_3
; %bb.1:
	s_andn2_b64 vcc, exec, s[0:1]
	s_cbranch_vccz .LBB26_40
.LBB26_2:
	s_endpgm
.LBB26_3:
	v_cmp_gt_u32_e32 vcc, s4, v0
	s_and_saveexec_b64 s[4:5], vcc
	s_cbranch_execz .LBB26_39
; %bb.4:
	v_add_u32_e32 v3, s18, v0
	s_movk_i32 s0, 0xfff
	v_mad_u64_u32 v[1:2], s[0:1], v3, s0, 0
	s_add_u32 s0, s10, s8
	s_addc_u32 s1, s11, s9
	v_cmp_lt_i64_e32 vcc, s[0:1], v[1:2]
	v_mov_b32_e32 v5, s1
	v_cndmask_b32_e32 v6, v2, v5, vcc
	v_mov_b32_e32 v2, s0
	v_cndmask_b32_e32 v5, v1, v2, vcc
	v_mov_b32_e32 v2, s11
	v_subrev_co_u32_e32 v1, vcc, s10, v5
	v_subb_co_u32_e32 v2, vcc, v6, v2, vcc
	v_cmp_lt_i64_e32 vcc, 0, v[1:2]
	v_mov_b32_e32 v7, s9
	v_cndmask_b32_e32 v2, 0, v2, vcc
	v_cndmask_b32_e32 v1, 0, v1, vcc
	v_cmp_lt_i64_e32 vcc, s[8:9], v[5:6]
	v_mov_b32_e32 v4, 0
	v_cndmask_b32_e32 v8, v6, v7, vcc
	v_mov_b32_e32 v7, s8
	v_cndmask_b32_e32 v7, v5, v7, vcc
	v_cmp_lt_i64_e32 vcc, v[1:2], v[7:8]
	s_mov_b64 s[6:7], 0
	s_and_saveexec_b64 s[0:1], vcc
	s_cbranch_execz .LBB26_8
; %bb.5:
	v_lshlrev_b64 v[9:10], 2, v[5:6]
	v_mov_b32_e32 v11, s3
	v_add_co_u32_e32 v9, vcc, s2, v9
	v_addc_co_u32_e32 v10, vcc, v11, v10, vcc
.LBB26_6:                               ; =>This Inner Loop Header: Depth=1
	v_add_co_u32_e32 v11, vcc, v7, v1
	v_addc_co_u32_e32 v12, vcc, v8, v2, vcc
	v_lshrrev_b64 v[11:12], 1, v[11:12]
	v_mov_b32_e32 v16, s15
	v_lshlrev_b64 v[13:14], 2, v[11:12]
	v_add_co_u32_e32 v15, vcc, s14, v13
	v_addc_co_u32_e32 v16, vcc, v16, v14, vcc
	v_xor_b32_e32 v13, -4, v13
	v_xor_b32_e32 v14, -1, v14
	v_add_co_u32_e32 v13, vcc, v9, v13
	v_addc_co_u32_e32 v14, vcc, v10, v14, vcc
	global_load_dword v15, v[15:16], off
	s_nop 0
	global_load_dword v13, v[13:14], off
	v_add_co_u32_e32 v14, vcc, 1, v11
	v_addc_co_u32_e32 v16, vcc, 0, v12, vcc
	s_waitcnt vmcnt(0)
	v_cmp_lt_i32_e32 vcc, v13, v15
	v_cndmask_b32_e32 v8, v8, v12, vcc
	v_cndmask_b32_e32 v7, v7, v11, vcc
	;; [unrolled: 1-line block ×4, first 2 shown]
	v_cmp_ge_i64_e32 vcc, v[1:2], v[7:8]
	s_or_b64 s[6:7], vcc, s[6:7]
	s_andn2_b64 exec, exec, s[6:7]
	s_cbranch_execnz .LBB26_6
; %bb.7:
	s_or_b64 exec, exec, s[6:7]
.LBB26_8:
	s_or_b64 exec, exec, s[0:1]
	v_sub_co_u32_e32 v11, vcc, v5, v1
	v_subb_co_u32_e32 v12, vcc, v6, v2, vcc
	v_cmp_gt_i64_e32 vcc, s[10:11], v[11:12]
	v_mov_b32_e32 v9, 0
	v_mov_b32_e32 v10, 0
	s_and_saveexec_b64 s[6:7], vcc
	s_cbranch_execz .LBB26_38
; %bb.9:
	v_lshlrev_b64 v[7:8], 2, v[11:12]
	v_mov_b32_e32 v10, s3
	v_add_co_u32_e32 v9, vcc, s2, v7
	v_addc_co_u32_e32 v10, vcc, v10, v8, vcc
	global_load_dword v19, v[9:10], off
	v_mov_b32_e32 v7, 0
	v_cmp_lt_i64_e32 vcc, 0, v[1:2]
	v_mov_b32_e32 v13, 0
	v_mov_b32_e32 v8, 0
	;; [unrolled: 1-line block ×3, first 2 shown]
	s_and_saveexec_b64 s[0:1], vcc
	s_cbranch_execnz .LBB26_14
; %bb.10:
	s_or_b64 exec, exec, s[0:1]
	v_cmp_lt_u64_e32 vcc, v[7:8], v[13:14]
	s_and_saveexec_b64 s[0:1], vcc
	s_cbranch_execnz .LBB26_15
.LBB26_11:
	s_or_b64 exec, exec, s[0:1]
	v_cmp_lt_u64_e32 vcc, v[7:8], v[13:14]
	s_and_saveexec_b64 s[0:1], vcc
	s_cbranch_execnz .LBB26_16
.LBB26_12:
	s_or_b64 exec, exec, s[0:1]
	v_cmp_lt_u64_e32 vcc, v[7:8], v[13:14]
	s_and_saveexec_b64 s[0:1], vcc
	s_cbranch_execnz .LBB26_17
.LBB26_13:
	s_or_b64 exec, exec, s[0:1]
	v_cmp_lt_u64_e32 vcc, v[7:8], v[13:14]
	s_and_saveexec_b64 s[0:1], vcc
	s_cbranch_execnz .LBB26_18
	s_branch .LBB26_21
.LBB26_14:
	s_movk_i32 s19, 0x1ff
	v_mad_u64_u32 v[7:8], s[16:17], v1, s19, 0
	v_mov_b32_e32 v15, s15
	v_mad_u64_u32 v[13:14], s[16:17], v2, s19, v[8:9]
	v_mov_b32_e32 v8, v13
	v_lshrrev_b64 v[13:14], 9, v[7:8]
	v_lshlrev_b64 v[7:8], 2, v[13:14]
	v_add_co_u32_e32 v7, vcc, s14, v7
	v_addc_co_u32_e32 v8, vcc, v15, v8, vcc
	global_load_dword v7, v[7:8], off
	v_add_co_u32_e32 v15, vcc, 1, v13
	v_addc_co_u32_e32 v8, vcc, 0, v14, vcc
	s_waitcnt vmcnt(0)
	v_cmp_lt_i32_e32 vcc, v7, v19
	v_cndmask_b32_e32 v8, 0, v8, vcc
	v_cndmask_b32_e32 v7, 0, v15, vcc
	;; [unrolled: 1-line block ×4, first 2 shown]
	s_or_b64 exec, exec, s[0:1]
	v_cmp_lt_u64_e32 vcc, v[7:8], v[13:14]
	s_and_saveexec_b64 s[0:1], vcc
	s_cbranch_execz .LBB26_11
.LBB26_15:
	s_movk_i32 s19, 0x7f
	v_mad_u64_u32 v[15:16], s[16:17], v13, s19, v[7:8]
	v_mov_b32_e32 v20, s15
	v_mad_u64_u32 v[16:17], s[16:17], v14, s19, v[16:17]
	v_lshrrev_b64 v[15:16], 7, v[15:16]
	v_lshlrev_b64 v[17:18], 2, v[15:16]
	v_add_co_u32_e32 v17, vcc, s14, v17
	v_addc_co_u32_e32 v18, vcc, v20, v18, vcc
	global_load_dword v17, v[17:18], off
	v_add_co_u32_e32 v18, vcc, 1, v15
	v_addc_co_u32_e32 v20, vcc, 0, v16, vcc
	s_waitcnt vmcnt(0)
	v_cmp_lt_i32_e32 vcc, v17, v19
	v_cndmask_b32_e32 v8, v8, v20, vcc
	v_cndmask_b32_e32 v7, v7, v18, vcc
	;; [unrolled: 1-line block ×4, first 2 shown]
	s_or_b64 exec, exec, s[0:1]
	v_cmp_lt_u64_e32 vcc, v[7:8], v[13:14]
	s_and_saveexec_b64 s[0:1], vcc
	s_cbranch_execz .LBB26_12
.LBB26_16:
	v_mad_u64_u32 v[15:16], s[16:17], v13, 31, v[7:8]
	v_mov_b32_e32 v20, s15
	v_mad_u64_u32 v[16:17], s[16:17], v14, 31, v[16:17]
	v_lshrrev_b64 v[15:16], 5, v[15:16]
	v_lshlrev_b64 v[17:18], 2, v[15:16]
	v_add_co_u32_e32 v17, vcc, s14, v17
	v_addc_co_u32_e32 v18, vcc, v20, v18, vcc
	global_load_dword v17, v[17:18], off
	v_add_co_u32_e32 v18, vcc, 1, v15
	v_addc_co_u32_e32 v20, vcc, 0, v16, vcc
	s_waitcnt vmcnt(0)
	v_cmp_lt_i32_e32 vcc, v17, v19
	v_cndmask_b32_e32 v8, v8, v20, vcc
	v_cndmask_b32_e32 v7, v7, v18, vcc
	v_cndmask_b32_e32 v14, v16, v14, vcc
	v_cndmask_b32_e32 v13, v15, v13, vcc
	s_or_b64 exec, exec, s[0:1]
	v_cmp_lt_u64_e32 vcc, v[7:8], v[13:14]
	s_and_saveexec_b64 s[0:1], vcc
	s_cbranch_execz .LBB26_13
.LBB26_17:
	v_mad_u64_u32 v[15:16], s[16:17], v13, 15, v[7:8]
	v_mov_b32_e32 v20, s15
	v_mad_u64_u32 v[16:17], s[16:17], v14, 15, v[16:17]
	v_lshrrev_b64 v[15:16], 4, v[15:16]
	v_lshlrev_b64 v[17:18], 2, v[15:16]
	v_add_co_u32_e32 v17, vcc, s14, v17
	v_addc_co_u32_e32 v18, vcc, v20, v18, vcc
	global_load_dword v17, v[17:18], off
	v_add_co_u32_e32 v18, vcc, 1, v15
	v_addc_co_u32_e32 v20, vcc, 0, v16, vcc
	s_waitcnt vmcnt(0)
	v_cmp_lt_i32_e32 vcc, v17, v19
	v_cndmask_b32_e32 v8, v8, v20, vcc
	v_cndmask_b32_e32 v7, v7, v18, vcc
	;; [unrolled: 1-line block ×4, first 2 shown]
	s_or_b64 exec, exec, s[0:1]
	v_cmp_lt_u64_e32 vcc, v[7:8], v[13:14]
	s_and_saveexec_b64 s[0:1], vcc
	s_cbranch_execz .LBB26_21
.LBB26_18:
	s_mov_b64 s[16:17], 0
	v_mov_b32_e32 v15, s15
.LBB26_19:                              ; =>This Inner Loop Header: Depth=1
	v_add_co_u32_e32 v16, vcc, v7, v13
	v_addc_co_u32_e32 v17, vcc, v8, v14, vcc
	v_lshrrev_b64 v[16:17], 1, v[16:17]
	v_lshlrev_b64 v[20:21], 2, v[16:17]
	v_add_co_u32_e32 v20, vcc, s14, v20
	v_addc_co_u32_e32 v21, vcc, v15, v21, vcc
	global_load_dword v18, v[20:21], off
	v_add_co_u32_e32 v20, vcc, 1, v16
	v_addc_co_u32_e32 v21, vcc, 0, v17, vcc
	s_waitcnt vmcnt(0)
	v_cmp_lt_i32_e32 vcc, v18, v19
	v_cndmask_b32_e32 v8, v8, v21, vcc
	v_cndmask_b32_e32 v7, v7, v20, vcc
	v_cndmask_b32_e32 v14, v17, v14, vcc
	v_cndmask_b32_e32 v13, v16, v13, vcc
	v_cmp_ge_i64_e32 vcc, v[7:8], v[13:14]
	s_or_b64 s[16:17], vcc, s[16:17]
	s_andn2_b64 exec, exec, s[16:17]
	s_cbranch_execnz .LBB26_19
; %bb.20:
	s_or_b64 exec, exec, s[16:17]
.LBB26_21:
	s_or_b64 exec, exec, s[0:1]
	v_mov_b32_e32 v13, 0
	v_cmp_lt_i64_e32 vcc, 0, v[11:12]
	v_mov_b32_e32 v16, v12
	v_mov_b32_e32 v14, 0
	;; [unrolled: 1-line block ×3, first 2 shown]
	s_and_saveexec_b64 s[0:1], vcc
	s_cbranch_execnz .LBB26_26
; %bb.22:
	s_or_b64 exec, exec, s[0:1]
	v_cmp_lt_i64_e32 vcc, v[13:14], v[15:16]
	s_and_saveexec_b64 s[0:1], vcc
	s_cbranch_execnz .LBB26_27
.LBB26_23:
	s_or_b64 exec, exec, s[0:1]
	v_cmp_lt_i64_e32 vcc, v[13:14], v[15:16]
	s_and_saveexec_b64 s[0:1], vcc
	s_cbranch_execnz .LBB26_28
.LBB26_24:
	s_or_b64 exec, exec, s[0:1]
	v_cmp_lt_i64_e32 vcc, v[13:14], v[15:16]
	s_and_saveexec_b64 s[0:1], vcc
	s_cbranch_execnz .LBB26_29
.LBB26_25:
	s_or_b64 exec, exec, s[0:1]
	v_cmp_lt_i64_e32 vcc, v[13:14], v[15:16]
	s_and_saveexec_b64 s[0:1], vcc
	s_cbranch_execnz .LBB26_30
	s_branch .LBB26_33
.LBB26_26:
	s_movk_i32 s19, 0x1ff
	v_mad_u64_u32 v[13:14], s[16:17], v11, s19, 0
	v_mov_b32_e32 v17, s3
	v_mad_u64_u32 v[14:15], s[16:17], v12, s19, v[14:15]
	v_lshrrev_b64 v[15:16], 9, v[13:14]
	v_lshlrev_b64 v[13:14], 2, v[15:16]
	v_add_co_u32_e32 v13, vcc, s2, v13
	v_addc_co_u32_e32 v14, vcc, v17, v14, vcc
	global_load_dword v13, v[13:14], off
	v_add_co_u32_e32 v17, vcc, 1, v15
	v_addc_co_u32_e32 v14, vcc, 0, v16, vcc
	s_waitcnt vmcnt(0)
	v_cmp_lt_i32_e32 vcc, v13, v19
	v_cndmask_b32_e32 v14, 0, v14, vcc
	v_cndmask_b32_e32 v13, 0, v17, vcc
	;; [unrolled: 1-line block ×4, first 2 shown]
	s_or_b64 exec, exec, s[0:1]
	v_cmp_lt_i64_e32 vcc, v[13:14], v[15:16]
	s_and_saveexec_b64 s[0:1], vcc
	s_cbranch_execz .LBB26_23
.LBB26_27:
	s_movk_i32 s19, 0x7f
	v_mad_u64_u32 v[17:18], s[16:17], v15, s19, v[13:14]
	v_mov_b32_e32 v22, s3
	s_waitcnt vmcnt(0)
	v_mad_u64_u32 v[20:21], s[16:17], v16, s19, v[18:19]
	v_mov_b32_e32 v18, v20
	v_lshrrev_b64 v[17:18], 7, v[17:18]
	v_lshlrev_b64 v[20:21], 2, v[17:18]
	v_add_co_u32_e32 v20, vcc, s2, v20
	v_addc_co_u32_e32 v21, vcc, v22, v21, vcc
	global_load_dword v20, v[20:21], off
	v_add_co_u32_e32 v21, vcc, 1, v17
	v_addc_co_u32_e32 v22, vcc, 0, v18, vcc
	s_waitcnt vmcnt(0)
	v_cmp_lt_i32_e32 vcc, v20, v19
	v_cndmask_b32_e32 v14, v14, v22, vcc
	v_cndmask_b32_e32 v13, v13, v21, vcc
	;; [unrolled: 1-line block ×4, first 2 shown]
	s_or_b64 exec, exec, s[0:1]
	v_cmp_lt_i64_e32 vcc, v[13:14], v[15:16]
	s_and_saveexec_b64 s[0:1], vcc
	s_cbranch_execz .LBB26_24
.LBB26_28:
	v_mad_u64_u32 v[17:18], s[16:17], v15, 31, v[13:14]
	v_mov_b32_e32 v22, s3
	s_waitcnt vmcnt(0)
	v_mad_u64_u32 v[20:21], s[16:17], v16, 31, v[18:19]
	v_mov_b32_e32 v18, v20
	v_lshrrev_b64 v[17:18], 5, v[17:18]
	v_lshlrev_b64 v[20:21], 2, v[17:18]
	v_add_co_u32_e32 v20, vcc, s2, v20
	v_addc_co_u32_e32 v21, vcc, v22, v21, vcc
	global_load_dword v20, v[20:21], off
	v_add_co_u32_e32 v21, vcc, 1, v17
	v_addc_co_u32_e32 v22, vcc, 0, v18, vcc
	s_waitcnt vmcnt(0)
	v_cmp_lt_i32_e32 vcc, v20, v19
	v_cndmask_b32_e32 v14, v14, v22, vcc
	v_cndmask_b32_e32 v13, v13, v21, vcc
	v_cndmask_b32_e32 v16, v18, v16, vcc
	v_cndmask_b32_e32 v15, v17, v15, vcc
	s_or_b64 exec, exec, s[0:1]
	v_cmp_lt_i64_e32 vcc, v[13:14], v[15:16]
	s_and_saveexec_b64 s[0:1], vcc
	s_cbranch_execz .LBB26_25
.LBB26_29:
	v_mad_u64_u32 v[17:18], s[16:17], v15, 15, v[13:14]
	v_mov_b32_e32 v22, s3
	s_waitcnt vmcnt(0)
	v_mad_u64_u32 v[20:21], s[16:17], v16, 15, v[18:19]
	v_mov_b32_e32 v18, v20
	v_lshrrev_b64 v[17:18], 4, v[17:18]
	v_lshlrev_b64 v[20:21], 2, v[17:18]
	v_add_co_u32_e32 v20, vcc, s2, v20
	v_addc_co_u32_e32 v21, vcc, v22, v21, vcc
	global_load_dword v20, v[20:21], off
	v_add_co_u32_e32 v21, vcc, 1, v17
	v_addc_co_u32_e32 v22, vcc, 0, v18, vcc
	s_waitcnt vmcnt(0)
	v_cmp_lt_i32_e32 vcc, v20, v19
	v_cndmask_b32_e32 v14, v14, v22, vcc
	v_cndmask_b32_e32 v13, v13, v21, vcc
	;; [unrolled: 1-line block ×4, first 2 shown]
	s_or_b64 exec, exec, s[0:1]
	v_cmp_lt_i64_e32 vcc, v[13:14], v[15:16]
	s_and_saveexec_b64 s[0:1], vcc
	s_cbranch_execz .LBB26_33
.LBB26_30:
	s_mov_b64 s[16:17], 0
	v_mov_b32_e32 v17, s3
.LBB26_31:                              ; =>This Inner Loop Header: Depth=1
	v_add_co_u32_e32 v20, vcc, v13, v15
	v_addc_co_u32_e32 v21, vcc, v14, v16, vcc
	v_lshrrev_b64 v[20:21], 1, v[20:21]
	v_lshlrev_b64 v[22:23], 2, v[20:21]
	v_add_co_u32_e32 v22, vcc, s2, v22
	v_addc_co_u32_e32 v23, vcc, v17, v23, vcc
	global_load_dword v18, v[22:23], off
	v_add_co_u32_e32 v22, vcc, 1, v20
	v_addc_co_u32_e32 v23, vcc, 0, v21, vcc
	s_waitcnt vmcnt(0)
	v_cmp_lt_i32_e32 vcc, v18, v19
	v_cndmask_b32_e32 v14, v14, v23, vcc
	v_cndmask_b32_e32 v13, v13, v22, vcc
	v_cndmask_b32_e32 v16, v21, v16, vcc
	v_cndmask_b32_e32 v15, v20, v15, vcc
	v_cmp_ge_i64_e32 vcc, v[13:14], v[15:16]
	s_or_b64 s[16:17], vcc, s[16:17]
	s_andn2_b64 exec, exec, s[16:17]
	s_cbranch_execnz .LBB26_31
; %bb.32:
	s_or_b64 exec, exec, s[16:17]
.LBB26_33:
	s_or_b64 exec, exec, s[0:1]
	v_sub_co_u32_e32 v1, vcc, v1, v7
	v_subb_co_u32_e32 v2, vcc, v2, v8, vcc
	v_sub_co_u32_e32 v17, vcc, v11, v13
	v_subb_co_u32_e32 v18, vcc, v12, v14, vcc
	v_add_co_u32_e32 v15, vcc, v17, v1
	v_addc_co_u32_e32 v16, vcc, v18, v2, vcc
	v_ashrrev_i64 v[1:2], 1, v[15:16]
	v_mov_b32_e32 v20, s11
	v_cmp_gt_i64_e32 vcc, v[1:2], v[17:18]
	v_cndmask_b32_e32 v1, v17, v1, vcc
	v_cndmask_b32_e32 v2, v18, v2, vcc
	v_add_co_u32_e32 v13, vcc, v13, v1
	v_addc_co_u32_e32 v14, vcc, v14, v2, vcc
	v_add_co_u32_e32 v13, vcc, 1, v13
	v_addc_co_u32_e32 v14, vcc, 0, v14, vcc
	v_cmp_gt_i64_e32 vcc, s[10:11], v[13:14]
	v_cndmask_b32_e32 v14, v20, v14, vcc
	v_mov_b32_e32 v20, s10
	v_cndmask_b32_e32 v13, v20, v13, vcc
	v_sub_co_u32_e32 v13, vcc, v13, v11
	v_subb_co_u32_e32 v14, vcc, v14, v12, vcc
	v_mov_b32_e32 v11, 0
	v_cmp_lt_i64_e32 vcc, 0, v[13:14]
	v_mov_b32_e32 v12, 0
	s_and_saveexec_b64 s[0:1], vcc
	s_cbranch_execz .LBB26_37
; %bb.34:
	v_mov_b32_e32 v11, 0
	v_mov_b32_e32 v12, 0
	s_mov_b64 s[16:17], 0
.LBB26_35:                              ; =>This Inner Loop Header: Depth=1
	v_add_co_u32_e32 v20, vcc, v11, v13
	v_addc_co_u32_e32 v21, vcc, v12, v14, vcc
	v_lshrrev_b64 v[20:21], 1, v[20:21]
	v_lshlrev_b64 v[22:23], 2, v[20:21]
	v_add_co_u32_e32 v22, vcc, v9, v22
	v_addc_co_u32_e32 v23, vcc, v10, v23, vcc
	global_load_dword v22, v[22:23], off
	v_add_co_u32_e32 v23, vcc, 1, v20
	v_addc_co_u32_e32 v24, vcc, 0, v21, vcc
	s_waitcnt vmcnt(0)
	v_cmp_lt_i32_e32 vcc, v19, v22
	v_cndmask_b32_e32 v12, v24, v12, vcc
	v_cndmask_b32_e32 v11, v23, v11, vcc
	;; [unrolled: 1-line block ×4, first 2 shown]
	v_cmp_ge_i64_e32 vcc, v[11:12], v[13:14]
	s_or_b64 s[16:17], vcc, s[16:17]
	s_andn2_b64 exec, exec, s[16:17]
	s_cbranch_execnz .LBB26_35
; %bb.36:
	s_or_b64 exec, exec, s[16:17]
	v_ashrrev_i32_e32 v12, 31, v11
.LBB26_37:
	s_or_b64 exec, exec, s[0:1]
	v_add_co_u32_e32 v9, vcc, v11, v17
	v_addc_co_u32_e32 v10, vcc, v12, v18, vcc
	v_cmp_lt_i64_e32 vcc, v[9:10], v[1:2]
	v_cmp_lt_i64_e64 s[0:1], v[1:2], v[9:10]
	v_cndmask_b32_e32 v13, v1, v9, vcc
	v_cndmask_b32_e32 v14, v2, v10, vcc
	v_sub_co_u32_e32 v11, vcc, v15, v13
	v_subb_co_u32_e32 v12, vcc, v16, v14, vcc
	v_add_co_u32_e32 v13, vcc, 1, v13
	v_addc_co_u32_e32 v14, vcc, 0, v14, vcc
	v_cmp_eq_u64_e32 vcc, v[11:12], v[13:14]
	s_and_b64 s[0:1], vcc, s[0:1]
	v_cndmask_b32_e64 v9, 0, 1, s[0:1]
	s_mov_b32 s0, 0
	v_add_co_u32_e32 v1, vcc, v11, v7
	v_mov_b32_e32 v10, s0
	v_addc_co_u32_e32 v2, vcc, v12, v8, vcc
.LBB26_38:
	s_or_b64 exec, exec, s[6:7]
	v_lshlrev_b64 v[3:4], 4, v[3:4]
	v_mov_b32_e32 v8, s13
	v_add_co_u32_e32 v7, vcc, s12, v3
	v_addc_co_u32_e32 v8, vcc, v8, v4, vcc
	v_add_co_u32_e32 v3, vcc, v9, v5
	v_addc_co_u32_e32 v4, vcc, v10, v6, vcc
	v_sub_co_u32_e32 v3, vcc, v3, v1
	v_subb_co_u32_e32 v4, vcc, v4, v2, vcc
	global_store_dwordx4 v[7:8], v[1:4], off
.LBB26_39:
	s_or_b64 exec, exec, s[4:5]
	s_cbranch_execnz .LBB26_2
.LBB26_40:
	v_add_u32_e32 v2, s18, v0
	s_movk_i32 s0, 0xfff
	v_mad_u64_u32 v[0:1], s[0:1], v2, s0, 0
	s_add_u32 s0, s10, s8
	s_addc_u32 s1, s11, s9
	v_cmp_lt_i64_e32 vcc, s[0:1], v[0:1]
	v_mov_b32_e32 v4, s1
	v_cndmask_b32_e32 v5, v1, v4, vcc
	v_mov_b32_e32 v1, s0
	v_cndmask_b32_e32 v4, v0, v1, vcc
	v_mov_b32_e32 v1, s11
	v_subrev_co_u32_e32 v0, vcc, s10, v4
	v_subb_co_u32_e32 v1, vcc, v5, v1, vcc
	v_cmp_lt_i64_e32 vcc, 0, v[0:1]
	v_mov_b32_e32 v6, s9
	v_cndmask_b32_e32 v1, 0, v1, vcc
	v_cndmask_b32_e32 v0, 0, v0, vcc
	v_cmp_lt_i64_e32 vcc, s[8:9], v[4:5]
	v_mov_b32_e32 v3, 0
	v_cndmask_b32_e32 v7, v5, v6, vcc
	v_mov_b32_e32 v6, s8
	v_cndmask_b32_e32 v6, v4, v6, vcc
	v_cmp_lt_i64_e32 vcc, v[0:1], v[6:7]
	s_mov_b64 s[4:5], 0
	s_and_saveexec_b64 s[0:1], vcc
	s_cbranch_execz .LBB26_44
; %bb.41:
	v_lshlrev_b64 v[8:9], 2, v[4:5]
	v_mov_b32_e32 v10, s3
	v_add_co_u32_e32 v8, vcc, s2, v8
	v_addc_co_u32_e32 v9, vcc, v10, v9, vcc
.LBB26_42:                              ; =>This Inner Loop Header: Depth=1
	v_add_co_u32_e32 v10, vcc, v6, v0
	v_addc_co_u32_e32 v11, vcc, v7, v1, vcc
	v_lshrrev_b64 v[10:11], 1, v[10:11]
	v_mov_b32_e32 v15, s15
	v_lshlrev_b64 v[12:13], 2, v[10:11]
	v_add_co_u32_e32 v14, vcc, s14, v12
	v_addc_co_u32_e32 v15, vcc, v15, v13, vcc
	v_xor_b32_e32 v12, -4, v12
	v_xor_b32_e32 v13, -1, v13
	v_add_co_u32_e32 v12, vcc, v8, v12
	v_addc_co_u32_e32 v13, vcc, v9, v13, vcc
	global_load_dword v14, v[14:15], off
	s_nop 0
	global_load_dword v12, v[12:13], off
	v_add_co_u32_e32 v13, vcc, 1, v10
	v_addc_co_u32_e32 v15, vcc, 0, v11, vcc
	s_waitcnt vmcnt(0)
	v_cmp_lt_i32_e32 vcc, v12, v14
	v_cndmask_b32_e32 v7, v7, v11, vcc
	v_cndmask_b32_e32 v6, v6, v10, vcc
	;; [unrolled: 1-line block ×4, first 2 shown]
	v_cmp_ge_i64_e32 vcc, v[0:1], v[6:7]
	s_or_b64 s[4:5], vcc, s[4:5]
	s_andn2_b64 exec, exec, s[4:5]
	s_cbranch_execnz .LBB26_42
; %bb.43:
	s_or_b64 exec, exec, s[4:5]
.LBB26_44:
	s_or_b64 exec, exec, s[0:1]
	v_sub_co_u32_e32 v10, vcc, v4, v0
	v_subb_co_u32_e32 v11, vcc, v5, v1, vcc
	v_cmp_gt_i64_e32 vcc, s[10:11], v[10:11]
	v_mov_b32_e32 v8, 0
	v_mov_b32_e32 v9, 0
	s_and_saveexec_b64 s[4:5], vcc
	s_cbranch_execz .LBB26_74
; %bb.45:
	v_lshlrev_b64 v[6:7], 2, v[10:11]
	v_mov_b32_e32 v9, s3
	v_add_co_u32_e32 v8, vcc, s2, v6
	v_addc_co_u32_e32 v9, vcc, v9, v7, vcc
	global_load_dword v18, v[8:9], off
	v_mov_b32_e32 v6, 0
	v_cmp_lt_i64_e32 vcc, 0, v[0:1]
	v_mov_b32_e32 v12, 0
	v_mov_b32_e32 v7, 0
	;; [unrolled: 1-line block ×3, first 2 shown]
	s_and_saveexec_b64 s[0:1], vcc
	s_cbranch_execnz .LBB26_50
; %bb.46:
	s_or_b64 exec, exec, s[0:1]
	v_cmp_lt_u64_e32 vcc, v[6:7], v[12:13]
	s_and_saveexec_b64 s[0:1], vcc
	s_cbranch_execnz .LBB26_51
.LBB26_47:
	s_or_b64 exec, exec, s[0:1]
	v_cmp_lt_u64_e32 vcc, v[6:7], v[12:13]
	s_and_saveexec_b64 s[0:1], vcc
	s_cbranch_execnz .LBB26_52
.LBB26_48:
	s_or_b64 exec, exec, s[0:1]
	v_cmp_lt_u64_e32 vcc, v[6:7], v[12:13]
	s_and_saveexec_b64 s[0:1], vcc
	s_cbranch_execnz .LBB26_53
.LBB26_49:
	s_or_b64 exec, exec, s[0:1]
	v_cmp_lt_u64_e32 vcc, v[6:7], v[12:13]
	s_and_saveexec_b64 s[0:1], vcc
	s_cbranch_execnz .LBB26_54
	s_branch .LBB26_57
.LBB26_50:
	s_movk_i32 s8, 0x1ff
	v_mad_u64_u32 v[6:7], s[6:7], v0, s8, 0
	v_mov_b32_e32 v14, s15
	v_mad_u64_u32 v[12:13], s[6:7], v1, s8, v[7:8]
	v_mov_b32_e32 v7, v12
	v_lshrrev_b64 v[12:13], 9, v[6:7]
	v_lshlrev_b64 v[6:7], 2, v[12:13]
	v_add_co_u32_e32 v6, vcc, s14, v6
	v_addc_co_u32_e32 v7, vcc, v14, v7, vcc
	global_load_dword v6, v[6:7], off
	v_add_co_u32_e32 v14, vcc, 1, v12
	v_addc_co_u32_e32 v7, vcc, 0, v13, vcc
	s_waitcnt vmcnt(0)
	v_cmp_lt_i32_e32 vcc, v6, v18
	v_cndmask_b32_e32 v7, 0, v7, vcc
	v_cndmask_b32_e32 v6, 0, v14, vcc
	;; [unrolled: 1-line block ×4, first 2 shown]
	s_or_b64 exec, exec, s[0:1]
	v_cmp_lt_u64_e32 vcc, v[6:7], v[12:13]
	s_and_saveexec_b64 s[0:1], vcc
	s_cbranch_execz .LBB26_47
.LBB26_51:
	s_movk_i32 s8, 0x7f
	v_mad_u64_u32 v[14:15], s[6:7], v12, s8, v[6:7]
	s_waitcnt vmcnt(2)
	v_mov_b32_e32 v19, s15
	v_mad_u64_u32 v[15:16], s[6:7], v13, s8, v[15:16]
	v_lshrrev_b64 v[14:15], 7, v[14:15]
	v_lshlrev_b64 v[16:17], 2, v[14:15]
	v_add_co_u32_e32 v16, vcc, s14, v16
	v_addc_co_u32_e32 v17, vcc, v19, v17, vcc
	global_load_dword v16, v[16:17], off
	v_add_co_u32_e32 v17, vcc, 1, v14
	v_addc_co_u32_e32 v19, vcc, 0, v15, vcc
	s_waitcnt vmcnt(0)
	v_cmp_lt_i32_e32 vcc, v16, v18
	v_cndmask_b32_e32 v7, v7, v19, vcc
	v_cndmask_b32_e32 v6, v6, v17, vcc
	;; [unrolled: 1-line block ×4, first 2 shown]
	s_or_b64 exec, exec, s[0:1]
	v_cmp_lt_u64_e32 vcc, v[6:7], v[12:13]
	s_and_saveexec_b64 s[0:1], vcc
	s_cbranch_execz .LBB26_48
.LBB26_52:
	v_mad_u64_u32 v[14:15], s[6:7], v12, 31, v[6:7]
	s_waitcnt vmcnt(2)
	v_mov_b32_e32 v19, s15
	v_mad_u64_u32 v[15:16], s[6:7], v13, 31, v[15:16]
	v_lshrrev_b64 v[14:15], 5, v[14:15]
	v_lshlrev_b64 v[16:17], 2, v[14:15]
	v_add_co_u32_e32 v16, vcc, s14, v16
	v_addc_co_u32_e32 v17, vcc, v19, v17, vcc
	global_load_dword v16, v[16:17], off
	v_add_co_u32_e32 v17, vcc, 1, v14
	v_addc_co_u32_e32 v19, vcc, 0, v15, vcc
	s_waitcnt vmcnt(0)
	v_cmp_lt_i32_e32 vcc, v16, v18
	v_cndmask_b32_e32 v7, v7, v19, vcc
	v_cndmask_b32_e32 v6, v6, v17, vcc
	;; [unrolled: 1-line block ×4, first 2 shown]
	s_or_b64 exec, exec, s[0:1]
	v_cmp_lt_u64_e32 vcc, v[6:7], v[12:13]
	s_and_saveexec_b64 s[0:1], vcc
	s_cbranch_execz .LBB26_49
.LBB26_53:
	v_mad_u64_u32 v[14:15], s[6:7], v12, 15, v[6:7]
	s_waitcnt vmcnt(2)
	v_mov_b32_e32 v19, s15
	v_mad_u64_u32 v[15:16], s[6:7], v13, 15, v[15:16]
	v_lshrrev_b64 v[14:15], 4, v[14:15]
	v_lshlrev_b64 v[16:17], 2, v[14:15]
	v_add_co_u32_e32 v16, vcc, s14, v16
	v_addc_co_u32_e32 v17, vcc, v19, v17, vcc
	global_load_dword v16, v[16:17], off
	v_add_co_u32_e32 v17, vcc, 1, v14
	v_addc_co_u32_e32 v19, vcc, 0, v15, vcc
	s_waitcnt vmcnt(0)
	v_cmp_lt_i32_e32 vcc, v16, v18
	v_cndmask_b32_e32 v7, v7, v19, vcc
	v_cndmask_b32_e32 v6, v6, v17, vcc
	;; [unrolled: 1-line block ×4, first 2 shown]
	s_or_b64 exec, exec, s[0:1]
	v_cmp_lt_u64_e32 vcc, v[6:7], v[12:13]
	s_and_saveexec_b64 s[0:1], vcc
	s_cbranch_execz .LBB26_57
.LBB26_54:
	s_mov_b64 s[6:7], 0
	v_mov_b32_e32 v14, s15
.LBB26_55:                              ; =>This Inner Loop Header: Depth=1
	v_add_co_u32_e32 v15, vcc, v6, v12
	v_addc_co_u32_e32 v16, vcc, v7, v13, vcc
	v_lshrrev_b64 v[15:16], 1, v[15:16]
	s_waitcnt vmcnt(2)
	v_lshlrev_b64 v[19:20], 2, v[15:16]
	v_add_co_u32_e32 v19, vcc, s14, v19
	v_addc_co_u32_e32 v20, vcc, v14, v20, vcc
	global_load_dword v17, v[19:20], off
	v_add_co_u32_e32 v19, vcc, 1, v15
	v_addc_co_u32_e32 v20, vcc, 0, v16, vcc
	s_waitcnt vmcnt(0)
	v_cmp_lt_i32_e32 vcc, v17, v18
	v_cndmask_b32_e32 v7, v7, v20, vcc
	v_cndmask_b32_e32 v6, v6, v19, vcc
	;; [unrolled: 1-line block ×4, first 2 shown]
	v_cmp_ge_i64_e32 vcc, v[6:7], v[12:13]
	s_or_b64 s[6:7], vcc, s[6:7]
	s_andn2_b64 exec, exec, s[6:7]
	s_cbranch_execnz .LBB26_55
; %bb.56:
	s_or_b64 exec, exec, s[6:7]
.LBB26_57:
	s_or_b64 exec, exec, s[0:1]
	v_mov_b32_e32 v12, 0
	v_cmp_lt_i64_e32 vcc, 0, v[10:11]
	v_mov_b32_e32 v15, v11
	v_mov_b32_e32 v13, 0
	;; [unrolled: 1-line block ×3, first 2 shown]
	s_and_saveexec_b64 s[0:1], vcc
	s_cbranch_execnz .LBB26_62
; %bb.58:
	s_or_b64 exec, exec, s[0:1]
	v_cmp_lt_i64_e32 vcc, v[12:13], v[14:15]
	s_and_saveexec_b64 s[0:1], vcc
	s_cbranch_execnz .LBB26_63
.LBB26_59:
	s_or_b64 exec, exec, s[0:1]
	v_cmp_lt_i64_e32 vcc, v[12:13], v[14:15]
	s_and_saveexec_b64 s[0:1], vcc
	s_cbranch_execnz .LBB26_64
.LBB26_60:
	s_or_b64 exec, exec, s[0:1]
	v_cmp_lt_i64_e32 vcc, v[12:13], v[14:15]
	s_and_saveexec_b64 s[0:1], vcc
	s_cbranch_execnz .LBB26_65
.LBB26_61:
	s_or_b64 exec, exec, s[0:1]
	v_cmp_lt_i64_e32 vcc, v[12:13], v[14:15]
	s_and_saveexec_b64 s[0:1], vcc
	s_cbranch_execnz .LBB26_66
	s_branch .LBB26_69
.LBB26_62:
	s_movk_i32 s8, 0x1ff
	v_mad_u64_u32 v[12:13], s[6:7], v10, s8, 0
	v_mov_b32_e32 v16, s3
	v_mad_u64_u32 v[13:14], s[6:7], v11, s8, v[13:14]
	v_lshrrev_b64 v[14:15], 9, v[12:13]
	v_lshlrev_b64 v[12:13], 2, v[14:15]
	v_add_co_u32_e32 v12, vcc, s2, v12
	v_addc_co_u32_e32 v13, vcc, v16, v13, vcc
	global_load_dword v12, v[12:13], off
	v_add_co_u32_e32 v16, vcc, 1, v14
	v_addc_co_u32_e32 v13, vcc, 0, v15, vcc
	s_waitcnt vmcnt(0)
	v_cmp_lt_i32_e32 vcc, v12, v18
	v_cndmask_b32_e32 v13, 0, v13, vcc
	v_cndmask_b32_e32 v12, 0, v16, vcc
	;; [unrolled: 1-line block ×4, first 2 shown]
	s_or_b64 exec, exec, s[0:1]
	v_cmp_lt_i64_e32 vcc, v[12:13], v[14:15]
	s_and_saveexec_b64 s[0:1], vcc
	s_cbranch_execz .LBB26_59
.LBB26_63:
	s_movk_i32 s8, 0x7f
	v_mad_u64_u32 v[16:17], s[6:7], v14, s8, v[12:13]
	v_mov_b32_e32 v21, s3
	s_waitcnt vmcnt(0)
	v_mad_u64_u32 v[19:20], s[6:7], v15, s8, v[17:18]
	v_mov_b32_e32 v17, v19
	v_lshrrev_b64 v[16:17], 7, v[16:17]
	v_lshlrev_b64 v[19:20], 2, v[16:17]
	v_add_co_u32_e32 v19, vcc, s2, v19
	v_addc_co_u32_e32 v20, vcc, v21, v20, vcc
	global_load_dword v19, v[19:20], off
	v_add_co_u32_e32 v20, vcc, 1, v16
	v_addc_co_u32_e32 v21, vcc, 0, v17, vcc
	s_waitcnt vmcnt(0)
	v_cmp_lt_i32_e32 vcc, v19, v18
	v_cndmask_b32_e32 v13, v13, v21, vcc
	v_cndmask_b32_e32 v12, v12, v20, vcc
	;; [unrolled: 1-line block ×4, first 2 shown]
	s_or_b64 exec, exec, s[0:1]
	v_cmp_lt_i64_e32 vcc, v[12:13], v[14:15]
	s_and_saveexec_b64 s[0:1], vcc
	s_cbranch_execz .LBB26_60
.LBB26_64:
	v_mad_u64_u32 v[16:17], s[6:7], v14, 31, v[12:13]
	v_mov_b32_e32 v21, s3
	s_waitcnt vmcnt(0)
	v_mad_u64_u32 v[19:20], s[6:7], v15, 31, v[17:18]
	v_mov_b32_e32 v17, v19
	v_lshrrev_b64 v[16:17], 5, v[16:17]
	v_lshlrev_b64 v[19:20], 2, v[16:17]
	v_add_co_u32_e32 v19, vcc, s2, v19
	v_addc_co_u32_e32 v20, vcc, v21, v20, vcc
	global_load_dword v19, v[19:20], off
	v_add_co_u32_e32 v20, vcc, 1, v16
	v_addc_co_u32_e32 v21, vcc, 0, v17, vcc
	s_waitcnt vmcnt(0)
	v_cmp_lt_i32_e32 vcc, v19, v18
	v_cndmask_b32_e32 v13, v13, v21, vcc
	v_cndmask_b32_e32 v12, v12, v20, vcc
	;; [unrolled: 1-line block ×4, first 2 shown]
	s_or_b64 exec, exec, s[0:1]
	v_cmp_lt_i64_e32 vcc, v[12:13], v[14:15]
	s_and_saveexec_b64 s[0:1], vcc
	s_cbranch_execz .LBB26_61
.LBB26_65:
	v_mad_u64_u32 v[16:17], s[6:7], v14, 15, v[12:13]
	v_mov_b32_e32 v21, s3
	s_waitcnt vmcnt(0)
	v_mad_u64_u32 v[19:20], s[6:7], v15, 15, v[17:18]
	v_mov_b32_e32 v17, v19
	v_lshrrev_b64 v[16:17], 4, v[16:17]
	v_lshlrev_b64 v[19:20], 2, v[16:17]
	v_add_co_u32_e32 v19, vcc, s2, v19
	v_addc_co_u32_e32 v20, vcc, v21, v20, vcc
	global_load_dword v19, v[19:20], off
	v_add_co_u32_e32 v20, vcc, 1, v16
	v_addc_co_u32_e32 v21, vcc, 0, v17, vcc
	s_waitcnt vmcnt(0)
	v_cmp_lt_i32_e32 vcc, v19, v18
	v_cndmask_b32_e32 v13, v13, v21, vcc
	v_cndmask_b32_e32 v12, v12, v20, vcc
	;; [unrolled: 1-line block ×4, first 2 shown]
	s_or_b64 exec, exec, s[0:1]
	v_cmp_lt_i64_e32 vcc, v[12:13], v[14:15]
	s_and_saveexec_b64 s[0:1], vcc
	s_cbranch_execz .LBB26_69
.LBB26_66:
	s_mov_b64 s[6:7], 0
	v_mov_b32_e32 v16, s3
.LBB26_67:                              ; =>This Inner Loop Header: Depth=1
	s_waitcnt vmcnt(2)
	v_add_co_u32_e32 v19, vcc, v12, v14
	v_addc_co_u32_e32 v20, vcc, v13, v15, vcc
	v_lshrrev_b64 v[19:20], 1, v[19:20]
	v_lshlrev_b64 v[21:22], 2, v[19:20]
	v_add_co_u32_e32 v21, vcc, s2, v21
	v_addc_co_u32_e32 v22, vcc, v16, v22, vcc
	global_load_dword v17, v[21:22], off
	v_add_co_u32_e32 v21, vcc, 1, v19
	v_addc_co_u32_e32 v22, vcc, 0, v20, vcc
	s_waitcnt vmcnt(0)
	v_cmp_lt_i32_e32 vcc, v17, v18
	v_cndmask_b32_e32 v13, v13, v22, vcc
	v_cndmask_b32_e32 v12, v12, v21, vcc
	;; [unrolled: 1-line block ×4, first 2 shown]
	v_cmp_ge_i64_e32 vcc, v[12:13], v[14:15]
	s_or_b64 s[6:7], vcc, s[6:7]
	s_andn2_b64 exec, exec, s[6:7]
	s_cbranch_execnz .LBB26_67
; %bb.68:
	s_or_b64 exec, exec, s[6:7]
.LBB26_69:
	s_or_b64 exec, exec, s[0:1]
	v_sub_co_u32_e32 v0, vcc, v0, v6
	v_subb_co_u32_e32 v1, vcc, v1, v7, vcc
	v_sub_co_u32_e32 v16, vcc, v10, v12
	v_subb_co_u32_e32 v17, vcc, v11, v13, vcc
	v_add_co_u32_e32 v14, vcc, v16, v0
	v_addc_co_u32_e32 v15, vcc, v17, v1, vcc
	v_ashrrev_i64 v[0:1], 1, v[14:15]
	s_waitcnt vmcnt(2)
	v_mov_b32_e32 v19, s11
	v_cmp_gt_i64_e32 vcc, v[0:1], v[16:17]
	v_cndmask_b32_e32 v0, v16, v0, vcc
	v_cndmask_b32_e32 v1, v17, v1, vcc
	v_add_co_u32_e32 v12, vcc, v12, v0
	v_addc_co_u32_e32 v13, vcc, v13, v1, vcc
	v_add_co_u32_e32 v12, vcc, 1, v12
	v_addc_co_u32_e32 v13, vcc, 0, v13, vcc
	v_cmp_gt_i64_e32 vcc, s[10:11], v[12:13]
	v_cndmask_b32_e32 v13, v19, v13, vcc
	v_mov_b32_e32 v19, s10
	v_cndmask_b32_e32 v12, v19, v12, vcc
	v_sub_co_u32_e32 v12, vcc, v12, v10
	v_subb_co_u32_e32 v13, vcc, v13, v11, vcc
	v_mov_b32_e32 v10, 0
	v_cmp_lt_i64_e32 vcc, 0, v[12:13]
	v_mov_b32_e32 v11, 0
	s_and_saveexec_b64 s[0:1], vcc
	s_cbranch_execz .LBB26_73
; %bb.70:
	v_mov_b32_e32 v10, 0
	v_mov_b32_e32 v11, 0
	s_mov_b64 s[2:3], 0
.LBB26_71:                              ; =>This Inner Loop Header: Depth=1
	v_add_co_u32_e32 v19, vcc, v10, v12
	v_addc_co_u32_e32 v20, vcc, v11, v13, vcc
	v_lshrrev_b64 v[19:20], 1, v[19:20]
	v_lshlrev_b64 v[21:22], 2, v[19:20]
	v_add_co_u32_e32 v21, vcc, v8, v21
	v_addc_co_u32_e32 v22, vcc, v9, v22, vcc
	global_load_dword v21, v[21:22], off
	v_add_co_u32_e32 v22, vcc, 1, v19
	v_addc_co_u32_e32 v23, vcc, 0, v20, vcc
	s_waitcnt vmcnt(0)
	v_cmp_lt_i32_e32 vcc, v18, v21
	v_cndmask_b32_e32 v11, v23, v11, vcc
	v_cndmask_b32_e32 v10, v22, v10, vcc
	v_cndmask_b32_e32 v13, v13, v20, vcc
	v_cndmask_b32_e32 v12, v12, v19, vcc
	v_cmp_ge_i64_e32 vcc, v[10:11], v[12:13]
	s_or_b64 s[2:3], vcc, s[2:3]
	s_andn2_b64 exec, exec, s[2:3]
	s_cbranch_execnz .LBB26_71
; %bb.72:
	s_or_b64 exec, exec, s[2:3]
	v_ashrrev_i32_e32 v11, 31, v10
.LBB26_73:
	s_or_b64 exec, exec, s[0:1]
	v_add_co_u32_e32 v8, vcc, v10, v16
	v_addc_co_u32_e32 v9, vcc, v11, v17, vcc
	v_cmp_lt_i64_e32 vcc, v[8:9], v[0:1]
	v_cmp_lt_i64_e64 s[0:1], v[0:1], v[8:9]
	v_cndmask_b32_e32 v12, v0, v8, vcc
	v_cndmask_b32_e32 v13, v1, v9, vcc
	v_sub_co_u32_e32 v10, vcc, v14, v12
	v_subb_co_u32_e32 v11, vcc, v15, v13, vcc
	v_add_co_u32_e32 v12, vcc, 1, v12
	v_addc_co_u32_e32 v13, vcc, 0, v13, vcc
	v_cmp_eq_u64_e32 vcc, v[10:11], v[12:13]
	s_and_b64 s[0:1], vcc, s[0:1]
	v_cndmask_b32_e64 v8, 0, 1, s[0:1]
	s_mov_b32 s0, 0
	v_add_co_u32_e32 v0, vcc, v10, v6
	v_mov_b32_e32 v9, s0
	v_addc_co_u32_e32 v1, vcc, v11, v7, vcc
.LBB26_74:
	s_or_b64 exec, exec, s[4:5]
	v_lshlrev_b64 v[2:3], 4, v[2:3]
	v_mov_b32_e32 v7, s13
	v_add_co_u32_e32 v6, vcc, s12, v2
	v_addc_co_u32_e32 v7, vcc, v7, v3, vcc
	v_add_co_u32_e32 v2, vcc, v8, v4
	v_addc_co_u32_e32 v3, vcc, v9, v5, vcc
	v_sub_co_u32_e32 v2, vcc, v2, v0
	v_subb_co_u32_e32 v3, vcc, v3, v1, vcc
	global_store_dwordx4 v[6:7], v[0:3], off
	s_endpgm
	.section	.rodata,"a",@progbits
	.p2align	6, 0x0
	.amdhsa_kernel _ZN6thrust23THRUST_200600_302600_NS11hip_rocprim14__parallel_for6kernelILj256EZNS1_16__set_operations9doit_stepILb0ENS0_6detail15normal_iteratorINS0_10device_ptrIKiEEEESB_PiSC_lNS7_INS8_IiEEEESC_NS0_4lessIiEENS4_31serial_set_symmetric_differenceEEE10hipError_tPvRmT0_T1_T2_T3_T4_SP_T5_T6_PSP_T7_T8_P12ihipStream_tbEUllE_jLj1EEEvSL_SM_SM_
		.amdhsa_group_segment_fixed_size 0
		.amdhsa_private_segment_fixed_size 0
		.amdhsa_kernarg_size 56
		.amdhsa_user_sgpr_count 6
		.amdhsa_user_sgpr_private_segment_buffer 1
		.amdhsa_user_sgpr_dispatch_ptr 0
		.amdhsa_user_sgpr_queue_ptr 0
		.amdhsa_user_sgpr_kernarg_segment_ptr 1
		.amdhsa_user_sgpr_dispatch_id 0
		.amdhsa_user_sgpr_flat_scratch_init 0
		.amdhsa_user_sgpr_private_segment_size 0
		.amdhsa_uses_dynamic_stack 0
		.amdhsa_system_sgpr_private_segment_wavefront_offset 0
		.amdhsa_system_sgpr_workgroup_id_x 1
		.amdhsa_system_sgpr_workgroup_id_y 0
		.amdhsa_system_sgpr_workgroup_id_z 0
		.amdhsa_system_sgpr_workgroup_info 0
		.amdhsa_system_vgpr_workitem_id 0
		.amdhsa_next_free_vgpr 25
		.amdhsa_next_free_sgpr 20
		.amdhsa_reserve_vcc 1
		.amdhsa_reserve_flat_scratch 0
		.amdhsa_float_round_mode_32 0
		.amdhsa_float_round_mode_16_64 0
		.amdhsa_float_denorm_mode_32 3
		.amdhsa_float_denorm_mode_16_64 3
		.amdhsa_dx10_clamp 1
		.amdhsa_ieee_mode 1
		.amdhsa_fp16_overflow 0
		.amdhsa_exception_fp_ieee_invalid_op 0
		.amdhsa_exception_fp_denorm_src 0
		.amdhsa_exception_fp_ieee_div_zero 0
		.amdhsa_exception_fp_ieee_overflow 0
		.amdhsa_exception_fp_ieee_underflow 0
		.amdhsa_exception_fp_ieee_inexact 0
		.amdhsa_exception_int_div_zero 0
	.end_amdhsa_kernel
	.section	.text._ZN6thrust23THRUST_200600_302600_NS11hip_rocprim14__parallel_for6kernelILj256EZNS1_16__set_operations9doit_stepILb0ENS0_6detail15normal_iteratorINS0_10device_ptrIKiEEEESB_PiSC_lNS7_INS8_IiEEEESC_NS0_4lessIiEENS4_31serial_set_symmetric_differenceEEE10hipError_tPvRmT0_T1_T2_T3_T4_SP_T5_T6_PSP_T7_T8_P12ihipStream_tbEUllE_jLj1EEEvSL_SM_SM_,"axG",@progbits,_ZN6thrust23THRUST_200600_302600_NS11hip_rocprim14__parallel_for6kernelILj256EZNS1_16__set_operations9doit_stepILb0ENS0_6detail15normal_iteratorINS0_10device_ptrIKiEEEESB_PiSC_lNS7_INS8_IiEEEESC_NS0_4lessIiEENS4_31serial_set_symmetric_differenceEEE10hipError_tPvRmT0_T1_T2_T3_T4_SP_T5_T6_PSP_T7_T8_P12ihipStream_tbEUllE_jLj1EEEvSL_SM_SM_,comdat
.Lfunc_end26:
	.size	_ZN6thrust23THRUST_200600_302600_NS11hip_rocprim14__parallel_for6kernelILj256EZNS1_16__set_operations9doit_stepILb0ENS0_6detail15normal_iteratorINS0_10device_ptrIKiEEEESB_PiSC_lNS7_INS8_IiEEEESC_NS0_4lessIiEENS4_31serial_set_symmetric_differenceEEE10hipError_tPvRmT0_T1_T2_T3_T4_SP_T5_T6_PSP_T7_T8_P12ihipStream_tbEUllE_jLj1EEEvSL_SM_SM_, .Lfunc_end26-_ZN6thrust23THRUST_200600_302600_NS11hip_rocprim14__parallel_for6kernelILj256EZNS1_16__set_operations9doit_stepILb0ENS0_6detail15normal_iteratorINS0_10device_ptrIKiEEEESB_PiSC_lNS7_INS8_IiEEEESC_NS0_4lessIiEENS4_31serial_set_symmetric_differenceEEE10hipError_tPvRmT0_T1_T2_T3_T4_SP_T5_T6_PSP_T7_T8_P12ihipStream_tbEUllE_jLj1EEEvSL_SM_SM_
                                        ; -- End function
	.set _ZN6thrust23THRUST_200600_302600_NS11hip_rocprim14__parallel_for6kernelILj256EZNS1_16__set_operations9doit_stepILb0ENS0_6detail15normal_iteratorINS0_10device_ptrIKiEEEESB_PiSC_lNS7_INS8_IiEEEESC_NS0_4lessIiEENS4_31serial_set_symmetric_differenceEEE10hipError_tPvRmT0_T1_T2_T3_T4_SP_T5_T6_PSP_T7_T8_P12ihipStream_tbEUllE_jLj1EEEvSL_SM_SM_.num_vgpr, 25
	.set _ZN6thrust23THRUST_200600_302600_NS11hip_rocprim14__parallel_for6kernelILj256EZNS1_16__set_operations9doit_stepILb0ENS0_6detail15normal_iteratorINS0_10device_ptrIKiEEEESB_PiSC_lNS7_INS8_IiEEEESC_NS0_4lessIiEENS4_31serial_set_symmetric_differenceEEE10hipError_tPvRmT0_T1_T2_T3_T4_SP_T5_T6_PSP_T7_T8_P12ihipStream_tbEUllE_jLj1EEEvSL_SM_SM_.num_agpr, 0
	.set _ZN6thrust23THRUST_200600_302600_NS11hip_rocprim14__parallel_for6kernelILj256EZNS1_16__set_operations9doit_stepILb0ENS0_6detail15normal_iteratorINS0_10device_ptrIKiEEEESB_PiSC_lNS7_INS8_IiEEEESC_NS0_4lessIiEENS4_31serial_set_symmetric_differenceEEE10hipError_tPvRmT0_T1_T2_T3_T4_SP_T5_T6_PSP_T7_T8_P12ihipStream_tbEUllE_jLj1EEEvSL_SM_SM_.numbered_sgpr, 20
	.set _ZN6thrust23THRUST_200600_302600_NS11hip_rocprim14__parallel_for6kernelILj256EZNS1_16__set_operations9doit_stepILb0ENS0_6detail15normal_iteratorINS0_10device_ptrIKiEEEESB_PiSC_lNS7_INS8_IiEEEESC_NS0_4lessIiEENS4_31serial_set_symmetric_differenceEEE10hipError_tPvRmT0_T1_T2_T3_T4_SP_T5_T6_PSP_T7_T8_P12ihipStream_tbEUllE_jLj1EEEvSL_SM_SM_.num_named_barrier, 0
	.set _ZN6thrust23THRUST_200600_302600_NS11hip_rocprim14__parallel_for6kernelILj256EZNS1_16__set_operations9doit_stepILb0ENS0_6detail15normal_iteratorINS0_10device_ptrIKiEEEESB_PiSC_lNS7_INS8_IiEEEESC_NS0_4lessIiEENS4_31serial_set_symmetric_differenceEEE10hipError_tPvRmT0_T1_T2_T3_T4_SP_T5_T6_PSP_T7_T8_P12ihipStream_tbEUllE_jLj1EEEvSL_SM_SM_.private_seg_size, 0
	.set _ZN6thrust23THRUST_200600_302600_NS11hip_rocprim14__parallel_for6kernelILj256EZNS1_16__set_operations9doit_stepILb0ENS0_6detail15normal_iteratorINS0_10device_ptrIKiEEEESB_PiSC_lNS7_INS8_IiEEEESC_NS0_4lessIiEENS4_31serial_set_symmetric_differenceEEE10hipError_tPvRmT0_T1_T2_T3_T4_SP_T5_T6_PSP_T7_T8_P12ihipStream_tbEUllE_jLj1EEEvSL_SM_SM_.uses_vcc, 1
	.set _ZN6thrust23THRUST_200600_302600_NS11hip_rocprim14__parallel_for6kernelILj256EZNS1_16__set_operations9doit_stepILb0ENS0_6detail15normal_iteratorINS0_10device_ptrIKiEEEESB_PiSC_lNS7_INS8_IiEEEESC_NS0_4lessIiEENS4_31serial_set_symmetric_differenceEEE10hipError_tPvRmT0_T1_T2_T3_T4_SP_T5_T6_PSP_T7_T8_P12ihipStream_tbEUllE_jLj1EEEvSL_SM_SM_.uses_flat_scratch, 0
	.set _ZN6thrust23THRUST_200600_302600_NS11hip_rocprim14__parallel_for6kernelILj256EZNS1_16__set_operations9doit_stepILb0ENS0_6detail15normal_iteratorINS0_10device_ptrIKiEEEESB_PiSC_lNS7_INS8_IiEEEESC_NS0_4lessIiEENS4_31serial_set_symmetric_differenceEEE10hipError_tPvRmT0_T1_T2_T3_T4_SP_T5_T6_PSP_T7_T8_P12ihipStream_tbEUllE_jLj1EEEvSL_SM_SM_.has_dyn_sized_stack, 0
	.set _ZN6thrust23THRUST_200600_302600_NS11hip_rocprim14__parallel_for6kernelILj256EZNS1_16__set_operations9doit_stepILb0ENS0_6detail15normal_iteratorINS0_10device_ptrIKiEEEESB_PiSC_lNS7_INS8_IiEEEESC_NS0_4lessIiEENS4_31serial_set_symmetric_differenceEEE10hipError_tPvRmT0_T1_T2_T3_T4_SP_T5_T6_PSP_T7_T8_P12ihipStream_tbEUllE_jLj1EEEvSL_SM_SM_.has_recursion, 0
	.set _ZN6thrust23THRUST_200600_302600_NS11hip_rocprim14__parallel_for6kernelILj256EZNS1_16__set_operations9doit_stepILb0ENS0_6detail15normal_iteratorINS0_10device_ptrIKiEEEESB_PiSC_lNS7_INS8_IiEEEESC_NS0_4lessIiEENS4_31serial_set_symmetric_differenceEEE10hipError_tPvRmT0_T1_T2_T3_T4_SP_T5_T6_PSP_T7_T8_P12ihipStream_tbEUllE_jLj1EEEvSL_SM_SM_.has_indirect_call, 0
	.section	.AMDGPU.csdata,"",@progbits
; Kernel info:
; codeLenInByte = 3912
; TotalNumSgprs: 24
; NumVgprs: 25
; ScratchSize: 0
; MemoryBound: 0
; FloatMode: 240
; IeeeMode: 1
; LDSByteSize: 0 bytes/workgroup (compile time only)
; SGPRBlocks: 2
; VGPRBlocks: 6
; NumSGPRsForWavesPerEU: 24
; NumVGPRsForWavesPerEU: 25
; Occupancy: 9
; WaveLimiterHint : 0
; COMPUTE_PGM_RSRC2:SCRATCH_EN: 0
; COMPUTE_PGM_RSRC2:USER_SGPR: 6
; COMPUTE_PGM_RSRC2:TRAP_HANDLER: 0
; COMPUTE_PGM_RSRC2:TGID_X_EN: 1
; COMPUTE_PGM_RSRC2:TGID_Y_EN: 0
; COMPUTE_PGM_RSRC2:TGID_Z_EN: 0
; COMPUTE_PGM_RSRC2:TIDIG_COMP_CNT: 0
	.section	.text._ZN6thrust23THRUST_200600_302600_NS11hip_rocprim16__set_operations22lookback_set_op_kernelIN7rocprim17ROCPRIM_400000_NS13kernel_configILj256ELj16ELj4294967295EEELb0ENS0_6detail15normal_iteratorINS0_10device_ptrIKiEEEESD_PiSE_lNS9_INSA_IiEEEESE_NS0_4lessIiEENS2_31serial_set_symmetric_differenceENS5_6detail19lookback_scan_stateIlLb0ELb1EEEEEvT1_T2_T3_T4_T6_T7_T8_T9_PNS0_4pairIT5_SW_EEPSW_T10_NSK_16ordered_block_idIjEE,"axG",@progbits,_ZN6thrust23THRUST_200600_302600_NS11hip_rocprim16__set_operations22lookback_set_op_kernelIN7rocprim17ROCPRIM_400000_NS13kernel_configILj256ELj16ELj4294967295EEELb0ENS0_6detail15normal_iteratorINS0_10device_ptrIKiEEEESD_PiSE_lNS9_INSA_IiEEEESE_NS0_4lessIiEENS2_31serial_set_symmetric_differenceENS5_6detail19lookback_scan_stateIlLb0ELb1EEEEEvT1_T2_T3_T4_T6_T7_T8_T9_PNS0_4pairIT5_SW_EEPSW_T10_NSK_16ordered_block_idIjEE,comdat
	.protected	_ZN6thrust23THRUST_200600_302600_NS11hip_rocprim16__set_operations22lookback_set_op_kernelIN7rocprim17ROCPRIM_400000_NS13kernel_configILj256ELj16ELj4294967295EEELb0ENS0_6detail15normal_iteratorINS0_10device_ptrIKiEEEESD_PiSE_lNS9_INSA_IiEEEESE_NS0_4lessIiEENS2_31serial_set_symmetric_differenceENS5_6detail19lookback_scan_stateIlLb0ELb1EEEEEvT1_T2_T3_T4_T6_T7_T8_T9_PNS0_4pairIT5_SW_EEPSW_T10_NSK_16ordered_block_idIjEE ; -- Begin function _ZN6thrust23THRUST_200600_302600_NS11hip_rocprim16__set_operations22lookback_set_op_kernelIN7rocprim17ROCPRIM_400000_NS13kernel_configILj256ELj16ELj4294967295EEELb0ENS0_6detail15normal_iteratorINS0_10device_ptrIKiEEEESD_PiSE_lNS9_INSA_IiEEEESE_NS0_4lessIiEENS2_31serial_set_symmetric_differenceENS5_6detail19lookback_scan_stateIlLb0ELb1EEEEEvT1_T2_T3_T4_T6_T7_T8_T9_PNS0_4pairIT5_SW_EEPSW_T10_NSK_16ordered_block_idIjEE
	.globl	_ZN6thrust23THRUST_200600_302600_NS11hip_rocprim16__set_operations22lookback_set_op_kernelIN7rocprim17ROCPRIM_400000_NS13kernel_configILj256ELj16ELj4294967295EEELb0ENS0_6detail15normal_iteratorINS0_10device_ptrIKiEEEESD_PiSE_lNS9_INSA_IiEEEESE_NS0_4lessIiEENS2_31serial_set_symmetric_differenceENS5_6detail19lookback_scan_stateIlLb0ELb1EEEEEvT1_T2_T3_T4_T6_T7_T8_T9_PNS0_4pairIT5_SW_EEPSW_T10_NSK_16ordered_block_idIjEE
	.p2align	8
	.type	_ZN6thrust23THRUST_200600_302600_NS11hip_rocprim16__set_operations22lookback_set_op_kernelIN7rocprim17ROCPRIM_400000_NS13kernel_configILj256ELj16ELj4294967295EEELb0ENS0_6detail15normal_iteratorINS0_10device_ptrIKiEEEESD_PiSE_lNS9_INSA_IiEEEESE_NS0_4lessIiEENS2_31serial_set_symmetric_differenceENS5_6detail19lookback_scan_stateIlLb0ELb1EEEEEvT1_T2_T3_T4_T6_T7_T8_T9_PNS0_4pairIT5_SW_EEPSW_T10_NSK_16ordered_block_idIjEE,@function
_ZN6thrust23THRUST_200600_302600_NS11hip_rocprim16__set_operations22lookback_set_op_kernelIN7rocprim17ROCPRIM_400000_NS13kernel_configILj256ELj16ELj4294967295EEELb0ENS0_6detail15normal_iteratorINS0_10device_ptrIKiEEEESD_PiSE_lNS9_INSA_IiEEEESE_NS0_4lessIiEENS2_31serial_set_symmetric_differenceENS5_6detail19lookback_scan_stateIlLb0ELb1EEEEEvT1_T2_T3_T4_T6_T7_T8_T9_PNS0_4pairIT5_SW_EEPSW_T10_NSK_16ordered_block_idIjEE: ; @_ZN6thrust23THRUST_200600_302600_NS11hip_rocprim16__set_operations22lookback_set_op_kernelIN7rocprim17ROCPRIM_400000_NS13kernel_configILj256ELj16ELj4294967295EEELb0ENS0_6detail15normal_iteratorINS0_10device_ptrIKiEEEESD_PiSE_lNS9_INSA_IiEEEESE_NS0_4lessIiEENS2_31serial_set_symmetric_differenceENS5_6detail19lookback_scan_stateIlLb0ELb1EEEEEvT1_T2_T3_T4_T6_T7_T8_T9_PNS0_4pairIT5_SW_EEPSW_T10_NSK_16ordered_block_idIjEE
; %bb.0:
	s_load_dword s0, s[4:5], 0x64
	s_load_dword s8, s[4:5], 0x58
	s_load_dwordx8 s[68:75], s[4:5], 0x38
	s_waitcnt lgkmcnt(0)
	s_lshr_b32 s1, s0, 16
	s_and_b32 s0, s0, 0xffff
	v_mad_u32_u24 v1, v2, s1, v1
	v_mul_lo_u32 v1, v1, s0
	v_sub_u32_e32 v2, 0, v0
	v_cmp_eq_u32_e32 vcc, v1, v2
	s_and_saveexec_b64 s[0:1], vcc
	s_cbranch_execz .LBB27_4
; %bb.1:
	s_mov_b64 s[6:7], exec
	v_mbcnt_lo_u32_b32 v1, s6, 0
	v_mbcnt_hi_u32_b32 v1, s7, v1
	v_cmp_eq_u32_e32 vcc, 0, v1
                                        ; implicit-def: $vgpr2
	s_and_saveexec_b64 s[2:3], vcc
	s_cbranch_execz .LBB27_3
; %bb.2:
	s_bcnt1_i32_b64 s6, s[6:7]
	v_mov_b32_e32 v2, 0
	v_mov_b32_e32 v3, s6
	global_atomic_add v2, v2, v3, s[74:75] glc
.LBB27_3:
	s_or_b64 exec, exec, s[2:3]
	s_waitcnt vmcnt(0)
	v_readfirstlane_b32 s2, v2
	v_add_u32_e32 v1, s2, v1
	v_mov_b32_e32 v2, 0
	ds_write_b32 v2, v1 offset:36864
.LBB27_4:
	s_or_b64 exec, exec, s[0:1]
	v_mov_b32_e32 v1, 0
	s_waitcnt lgkmcnt(0)
	s_barrier
	ds_read_b32 v9, v1 offset:36864
	s_add_i32 s8, s8, -1
	s_waitcnt lgkmcnt(0)
	v_readfirstlane_b32 s74, v9
	s_ashr_i32 s75, s74, 31
	s_lshl_b64 s[0:1], s[74:75], 4
	s_add_u32 s0, s68, s0
	s_addc_u32 s1, s69, s1
	global_load_dwordx4 v[2:5], v1, s[0:1] offset:16
	global_load_dwordx4 v[5:8], v1, s[0:1]
                                        ; kill: killed $sgpr0 killed $sgpr1
	s_load_dwordx4 s[0:3], s[4:5], 0x0
	s_load_dwordx2 s[68:69], s[4:5], 0x20
	v_cmp_le_i32_e32 vcc, s8, v9
	s_and_b64 vcc, exec, vcc
	s_waitcnt lgkmcnt(0)
	v_mov_b32_e32 v10, s1
	v_mov_b32_e32 v11, s3
	s_waitcnt vmcnt(0)
	v_sub_u32_e32 v18, v2, v5
	v_lshlrev_b64 v[2:3], 2, v[5:6]
	v_sub_u32_e32 v19, v4, v7
	v_lshlrev_b64 v[4:5], 2, v[7:8]
	v_add_co_u32_e64 v22, s[0:1], s0, v2
	v_addc_co_u32_e64 v23, s[0:1], v10, v3, s[0:1]
	v_add_co_u32_e64 v20, s[0:1], s2, v4
	v_addc_co_u32_e64 v21, s[0:1], v11, v5, s[0:1]
	s_mov_b64 s[0:1], -1
	s_cbranch_vccz .LBB27_243
; %bb.5:
	v_add_u32_e32 v3, v19, v18
	v_cmp_lt_i32_e32 vcc, v0, v3
	v_mov_b32_e32 v2, v1
	v_mov_b32_e32 v4, v1
	;; [unrolled: 1-line block ×15, first 2 shown]
	s_and_saveexec_b64 s[0:1], vcc
	s_cbranch_execz .LBB27_7
; %bb.6:
	v_lshlrev_b32_e32 v1, 2, v0
	v_mov_b32_e32 v2, 0
	v_add_co_u32_e32 v6, vcc, v22, v1
	v_sub_u32_e32 v1, v0, v18
	v_lshlrev_b64 v[4:5], 2, v[1:2]
	v_addc_co_u32_e32 v7, vcc, 0, v23, vcc
	v_add_co_u32_e32 v1, vcc, v20, v4
	v_addc_co_u32_e32 v4, vcc, v21, v5, vcc
	v_cmp_lt_i32_e32 vcc, v0, v18
	v_cndmask_b32_e32 v5, v4, v7, vcc
	v_cndmask_b32_e32 v4, v1, v6, vcc
	global_load_dword v1, v[4:5], off
	v_mov_b32_e32 v4, v2
	v_mov_b32_e32 v6, v2
	;; [unrolled: 1-line block ×14, first 2 shown]
.LBB27_7:
	s_or_b64 exec, exec, s[0:1]
	v_or_b32_e32 v24, 0x100, v0
	v_cmp_lt_i32_e32 vcc, v24, v3
	s_and_saveexec_b64 s[0:1], vcc
	s_cbranch_execz .LBB27_9
; %bb.8:
	v_lshlrev_b32_e32 v2, 2, v0
	v_add_co_u32_e32 v2, vcc, v22, v2
	v_addc_co_u32_e32 v25, vcc, 0, v23, vcc
	v_add_co_u32_e32 v2, vcc, 0x400, v2
	v_mov_b32_e32 v26, 0
	v_addc_co_u32_e32 v27, vcc, 0, v25, vcc
	v_sub_u32_e32 v25, v24, v18
	v_lshlrev_b64 v[25:26], 2, v[25:26]
	v_add_co_u32_e32 v28, vcc, v20, v25
	v_addc_co_u32_e32 v25, vcc, v21, v26, vcc
	v_cmp_lt_i32_e32 vcc, v24, v18
	v_cndmask_b32_e32 v25, v25, v27, vcc
	v_cndmask_b32_e32 v24, v28, v2, vcc
	global_load_dword v2, v[24:25], off
.LBB27_9:
	s_or_b64 exec, exec, s[0:1]
	v_or_b32_e32 v24, 0x200, v0
	v_cmp_lt_i32_e32 vcc, v24, v3
	s_and_saveexec_b64 s[0:1], vcc
	s_cbranch_execz .LBB27_11
; %bb.10:
	v_lshlrev_b32_e32 v4, 2, v0
	v_add_co_u32_e32 v4, vcc, v22, v4
	v_addc_co_u32_e32 v25, vcc, 0, v23, vcc
	v_add_co_u32_e32 v4, vcc, 0x800, v4
	v_mov_b32_e32 v26, 0
	v_addc_co_u32_e32 v27, vcc, 0, v25, vcc
	v_sub_u32_e32 v25, v24, v18
	v_lshlrev_b64 v[25:26], 2, v[25:26]
	v_add_co_u32_e32 v28, vcc, v20, v25
	v_addc_co_u32_e32 v25, vcc, v21, v26, vcc
	v_cmp_lt_i32_e32 vcc, v24, v18
	v_cndmask_b32_e32 v25, v25, v27, vcc
	v_cndmask_b32_e32 v24, v28, v4, vcc
	global_load_dword v4, v[24:25], off
.LBB27_11:
	;; [unrolled: 21-line block ×3, first 2 shown]
	s_or_b64 exec, exec, s[0:1]
	v_or_b32_e32 v24, 0x400, v0
	v_cmp_lt_i32_e32 vcc, v24, v3
	s_and_saveexec_b64 s[0:1], vcc
	s_cbranch_execz .LBB27_15
; %bb.14:
	v_lshlrev_b32_e32 v5, 2, v24
	v_mov_b32_e32 v26, 0
	v_sub_u32_e32 v25, v24, v18
	v_add_co_u32_e32 v5, vcc, v22, v5
	v_lshlrev_b64 v[25:26], 2, v[25:26]
	v_addc_co_u32_e32 v27, vcc, 0, v23, vcc
	v_add_co_u32_e32 v28, vcc, v20, v25
	v_addc_co_u32_e32 v25, vcc, v21, v26, vcc
	v_cmp_lt_i32_e32 vcc, v24, v18
	v_cndmask_b32_e32 v25, v25, v27, vcc
	v_cndmask_b32_e32 v24, v28, v5, vcc
	global_load_dword v5, v[24:25], off
.LBB27_15:
	s_or_b64 exec, exec, s[0:1]
	v_or_b32_e32 v24, 0x500, v0
	v_cmp_lt_i32_e32 vcc, v24, v3
	s_and_saveexec_b64 s[0:1], vcc
	s_cbranch_execz .LBB27_17
; %bb.16:
	v_lshlrev_b32_e32 v7, 2, v24
	v_mov_b32_e32 v26, 0
	v_sub_u32_e32 v25, v24, v18
	v_add_co_u32_e32 v7, vcc, v22, v7
	v_lshlrev_b64 v[25:26], 2, v[25:26]
	v_addc_co_u32_e32 v27, vcc, 0, v23, vcc
	v_add_co_u32_e32 v28, vcc, v20, v25
	v_addc_co_u32_e32 v25, vcc, v21, v26, vcc
	v_cmp_lt_i32_e32 vcc, v24, v18
	v_cndmask_b32_e32 v25, v25, v27, vcc
	v_cndmask_b32_e32 v24, v28, v7, vcc
	global_load_dword v7, v[24:25], off
.LBB27_17:
	s_or_b64 exec, exec, s[0:1]
	v_or_b32_e32 v24, 0x600, v0
	v_cmp_lt_i32_e32 vcc, v24, v3
	s_and_saveexec_b64 s[0:1], vcc
	s_cbranch_execz .LBB27_19
; %bb.18:
	v_lshlrev_b32_e32 v8, 2, v24
	v_mov_b32_e32 v26, 0
	v_sub_u32_e32 v25, v24, v18
	v_add_co_u32_e32 v8, vcc, v22, v8
	v_lshlrev_b64 v[25:26], 2, v[25:26]
	v_addc_co_u32_e32 v27, vcc, 0, v23, vcc
	v_add_co_u32_e32 v28, vcc, v20, v25
	v_addc_co_u32_e32 v25, vcc, v21, v26, vcc
	v_cmp_lt_i32_e32 vcc, v24, v18
	v_cndmask_b32_e32 v25, v25, v27, vcc
	v_cndmask_b32_e32 v24, v28, v8, vcc
	global_load_dword v8, v[24:25], off
.LBB27_19:
	s_or_b64 exec, exec, s[0:1]
	v_or_b32_e32 v24, 0x700, v0
	v_cmp_lt_i32_e32 vcc, v24, v3
	s_and_saveexec_b64 s[0:1], vcc
	s_cbranch_execz .LBB27_21
; %bb.20:
	v_lshlrev_b32_e32 v9, 2, v24
	v_mov_b32_e32 v26, 0
	v_sub_u32_e32 v25, v24, v18
	v_add_co_u32_e32 v9, vcc, v22, v9
	v_lshlrev_b64 v[25:26], 2, v[25:26]
	v_addc_co_u32_e32 v27, vcc, 0, v23, vcc
	v_add_co_u32_e32 v28, vcc, v20, v25
	v_addc_co_u32_e32 v25, vcc, v21, v26, vcc
	v_cmp_lt_i32_e32 vcc, v24, v18
	v_cndmask_b32_e32 v25, v25, v27, vcc
	v_cndmask_b32_e32 v24, v28, v9, vcc
	global_load_dword v9, v[24:25], off
.LBB27_21:
	s_or_b64 exec, exec, s[0:1]
	v_or_b32_e32 v24, 0x800, v0
	v_cmp_lt_i32_e32 vcc, v24, v3
	s_and_saveexec_b64 s[0:1], vcc
	s_cbranch_execz .LBB27_23
; %bb.22:
	v_lshlrev_b32_e32 v10, 2, v24
	v_mov_b32_e32 v26, 0
	v_sub_u32_e32 v25, v24, v18
	v_add_co_u32_e32 v10, vcc, v22, v10
	v_lshlrev_b64 v[25:26], 2, v[25:26]
	v_addc_co_u32_e32 v27, vcc, 0, v23, vcc
	v_add_co_u32_e32 v28, vcc, v20, v25
	v_addc_co_u32_e32 v25, vcc, v21, v26, vcc
	v_cmp_lt_i32_e32 vcc, v24, v18
	v_cndmask_b32_e32 v25, v25, v27, vcc
	v_cndmask_b32_e32 v24, v28, v10, vcc
	global_load_dword v10, v[24:25], off
.LBB27_23:
	s_or_b64 exec, exec, s[0:1]
	v_or_b32_e32 v24, 0x900, v0
	v_cmp_lt_i32_e32 vcc, v24, v3
	s_and_saveexec_b64 s[0:1], vcc
	s_cbranch_execz .LBB27_25
; %bb.24:
	v_lshlrev_b32_e32 v11, 2, v24
	v_mov_b32_e32 v26, 0
	v_sub_u32_e32 v25, v24, v18
	v_add_co_u32_e32 v11, vcc, v22, v11
	v_lshlrev_b64 v[25:26], 2, v[25:26]
	v_addc_co_u32_e32 v27, vcc, 0, v23, vcc
	v_add_co_u32_e32 v28, vcc, v20, v25
	v_addc_co_u32_e32 v25, vcc, v21, v26, vcc
	v_cmp_lt_i32_e32 vcc, v24, v18
	v_cndmask_b32_e32 v25, v25, v27, vcc
	v_cndmask_b32_e32 v24, v28, v11, vcc
	global_load_dword v11, v[24:25], off
.LBB27_25:
	s_or_b64 exec, exec, s[0:1]
	v_or_b32_e32 v24, 0xa00, v0
	v_cmp_lt_i32_e32 vcc, v24, v3
	s_and_saveexec_b64 s[0:1], vcc
	s_cbranch_execz .LBB27_27
; %bb.26:
	v_lshlrev_b32_e32 v12, 2, v24
	v_mov_b32_e32 v26, 0
	v_sub_u32_e32 v25, v24, v18
	v_add_co_u32_e32 v12, vcc, v22, v12
	v_lshlrev_b64 v[25:26], 2, v[25:26]
	v_addc_co_u32_e32 v27, vcc, 0, v23, vcc
	v_add_co_u32_e32 v28, vcc, v20, v25
	v_addc_co_u32_e32 v25, vcc, v21, v26, vcc
	v_cmp_lt_i32_e32 vcc, v24, v18
	v_cndmask_b32_e32 v25, v25, v27, vcc
	v_cndmask_b32_e32 v24, v28, v12, vcc
	global_load_dword v12, v[24:25], off
.LBB27_27:
	s_or_b64 exec, exec, s[0:1]
	v_or_b32_e32 v24, 0xb00, v0
	v_cmp_lt_i32_e32 vcc, v24, v3
	s_and_saveexec_b64 s[0:1], vcc
	s_cbranch_execz .LBB27_29
; %bb.28:
	v_lshlrev_b32_e32 v13, 2, v24
	v_mov_b32_e32 v26, 0
	v_sub_u32_e32 v25, v24, v18
	v_add_co_u32_e32 v13, vcc, v22, v13
	v_lshlrev_b64 v[25:26], 2, v[25:26]
	v_addc_co_u32_e32 v27, vcc, 0, v23, vcc
	v_add_co_u32_e32 v28, vcc, v20, v25
	v_addc_co_u32_e32 v25, vcc, v21, v26, vcc
	v_cmp_lt_i32_e32 vcc, v24, v18
	v_cndmask_b32_e32 v25, v25, v27, vcc
	v_cndmask_b32_e32 v24, v28, v13, vcc
	global_load_dword v13, v[24:25], off
.LBB27_29:
	s_or_b64 exec, exec, s[0:1]
	v_or_b32_e32 v24, 0xc00, v0
	v_cmp_lt_i32_e32 vcc, v24, v3
	s_and_saveexec_b64 s[0:1], vcc
	s_cbranch_execz .LBB27_31
; %bb.30:
	v_lshlrev_b32_e32 v14, 2, v24
	v_mov_b32_e32 v26, 0
	v_sub_u32_e32 v25, v24, v18
	v_add_co_u32_e32 v14, vcc, v22, v14
	v_lshlrev_b64 v[25:26], 2, v[25:26]
	v_addc_co_u32_e32 v27, vcc, 0, v23, vcc
	v_add_co_u32_e32 v28, vcc, v20, v25
	v_addc_co_u32_e32 v25, vcc, v21, v26, vcc
	v_cmp_lt_i32_e32 vcc, v24, v18
	v_cndmask_b32_e32 v25, v25, v27, vcc
	v_cndmask_b32_e32 v24, v28, v14, vcc
	global_load_dword v14, v[24:25], off
.LBB27_31:
	s_or_b64 exec, exec, s[0:1]
	v_or_b32_e32 v24, 0xd00, v0
	v_cmp_lt_i32_e32 vcc, v24, v3
	s_and_saveexec_b64 s[0:1], vcc
	s_cbranch_execz .LBB27_33
; %bb.32:
	v_lshlrev_b32_e32 v15, 2, v24
	v_mov_b32_e32 v26, 0
	v_sub_u32_e32 v25, v24, v18
	v_add_co_u32_e32 v15, vcc, v22, v15
	v_lshlrev_b64 v[25:26], 2, v[25:26]
	v_addc_co_u32_e32 v27, vcc, 0, v23, vcc
	v_add_co_u32_e32 v28, vcc, v20, v25
	v_addc_co_u32_e32 v25, vcc, v21, v26, vcc
	v_cmp_lt_i32_e32 vcc, v24, v18
	v_cndmask_b32_e32 v25, v25, v27, vcc
	v_cndmask_b32_e32 v24, v28, v15, vcc
	global_load_dword v15, v[24:25], off
.LBB27_33:
	s_or_b64 exec, exec, s[0:1]
	v_or_b32_e32 v24, 0xe00, v0
	v_cmp_lt_i32_e32 vcc, v24, v3
	s_and_saveexec_b64 s[0:1], vcc
	s_cbranch_execz .LBB27_35
; %bb.34:
	v_lshlrev_b32_e32 v16, 2, v24
	v_mov_b32_e32 v26, 0
	v_sub_u32_e32 v25, v24, v18
	v_add_co_u32_e32 v16, vcc, v22, v16
	v_lshlrev_b64 v[25:26], 2, v[25:26]
	v_addc_co_u32_e32 v27, vcc, 0, v23, vcc
	v_add_co_u32_e32 v28, vcc, v20, v25
	v_addc_co_u32_e32 v25, vcc, v21, v26, vcc
	v_cmp_lt_i32_e32 vcc, v24, v18
	v_cndmask_b32_e32 v25, v25, v27, vcc
	v_cndmask_b32_e32 v24, v28, v16, vcc
	global_load_dword v16, v[24:25], off
.LBB27_35:
	s_or_b64 exec, exec, s[0:1]
	v_or_b32_e32 v24, 0xf00, v0
	v_cmp_lt_i32_e32 vcc, v24, v3
	s_and_saveexec_b64 s[0:1], vcc
	s_cbranch_execz .LBB27_37
; %bb.36:
	v_lshlrev_b32_e32 v17, 2, v24
	v_mov_b32_e32 v26, 0
	v_sub_u32_e32 v25, v24, v18
	v_add_co_u32_e32 v17, vcc, v22, v17
	v_lshlrev_b64 v[25:26], 2, v[25:26]
	v_addc_co_u32_e32 v27, vcc, 0, v23, vcc
	v_add_co_u32_e32 v28, vcc, v20, v25
	v_addc_co_u32_e32 v25, vcc, v21, v26, vcc
	v_cmp_lt_i32_e32 vcc, v24, v18
	v_cndmask_b32_e32 v25, v25, v27, vcc
	v_cndmask_b32_e32 v24, v28, v17, vcc
	global_load_dword v17, v[24:25], off
.LBB27_37:
	s_or_b64 exec, exec, s[0:1]
	v_lshlrev_b32_e32 v24, 2, v0
	s_waitcnt vmcnt(0)
	ds_write2st64_b32 v24, v1, v2 offset0:76 offset1:80
	ds_write2st64_b32 v24, v4, v6 offset0:84 offset1:88
	;; [unrolled: 1-line block ×8, first 2 shown]
	v_lshlrev_b32_e32 v1, 4, v0
	v_min_i32_e32 v2, v3, v1
	v_lshlrev_b32_e32 v1, 2, v18
	v_add_u32_e32 v3, 0x4800, v1
	v_sub_u32_e32 v1, v2, v19
	v_max_i32_e32 v1, 0, v1
	v_min_i32_e32 v4, v18, v2
	v_cmp_lt_i32_e32 vcc, v1, v4
	s_waitcnt lgkmcnt(0)
	s_barrier
	s_and_saveexec_b64 s[0:1], vcc
	s_cbranch_execz .LBB27_41
; %bb.38:
	v_lshl_add_u32 v5, v2, 2, v3
	v_add_u32_e32 v5, 0x400, v5
	s_mov_b64 s[2:3], 0
.LBB27_39:                              ; =>This Inner Loop Header: Depth=1
	v_add_u32_e32 v6, v4, v1
	v_lshrrev_b32_e32 v6, 1, v6
	v_not_b32_e32 v8, v6
	v_lshlrev_b32_e32 v7, 2, v6
	v_lshl_add_u32 v8, v8, 2, v5
	ds_read_b32 v7, v7 offset:19456
	ds_read_b32 v8, v8
	v_add_u32_e32 v9, 1, v6
	s_waitcnt lgkmcnt(0)
	v_cmp_lt_i32_e32 vcc, v8, v7
	v_cndmask_b32_e32 v4, v4, v6, vcc
	v_cndmask_b32_e32 v1, v9, v1, vcc
	v_cmp_ge_i32_e32 vcc, v1, v4
	s_or_b64 s[2:3], vcc, s[2:3]
	s_andn2_b64 exec, exec, s[2:3]
	s_cbranch_execnz .LBB27_39
; %bb.40:
	s_or_b64 exec, exec, s[2:3]
.LBB27_41:
	s_or_b64 exec, exec, s[0:1]
	v_sub_u32_e32 v8, v2, v1
	v_or_b32_e32 v4, 0x4800, v24
	v_cmp_lt_i32_e32 vcc, v8, v19
	v_mov_b32_e32 v6, 0
	s_and_saveexec_b64 s[2:3], vcc
	s_cbranch_execz .LBB27_71
; %bb.42:
	v_lshl_add_u32 v6, v8, 2, v3
	ds_read_b32 v7, v6 offset:1024
	v_mov_b32_e32 v5, 0
	v_cmp_lt_i32_e32 vcc, 0, v1
	v_mov_b32_e32 v9, 0
	s_and_saveexec_b64 s[0:1], vcc
	s_cbranch_execnz .LBB27_47
; %bb.43:
	s_or_b64 exec, exec, s[0:1]
	v_cmp_lt_i32_e32 vcc, v5, v9
	s_and_saveexec_b64 s[0:1], vcc
	s_cbranch_execnz .LBB27_48
.LBB27_44:
	s_or_b64 exec, exec, s[0:1]
	v_cmp_lt_i32_e32 vcc, v5, v9
	s_and_saveexec_b64 s[0:1], vcc
	s_cbranch_execnz .LBB27_49
.LBB27_45:
	s_or_b64 exec, exec, s[0:1]
	v_cmp_lt_i32_e32 vcc, v5, v9
	s_and_saveexec_b64 s[0:1], vcc
	s_cbranch_execnz .LBB27_50
.LBB27_46:
	s_or_b64 exec, exec, s[0:1]
	v_cmp_lt_i32_e32 vcc, v5, v9
	s_and_saveexec_b64 s[0:1], vcc
	s_cbranch_execnz .LBB27_51
	s_branch .LBB27_54
.LBB27_47:
	s_movk_i32 s4, 0x1ff
	v_mul_lo_u32 v5, v1, s4
	v_ashrrev_i32_e32 v9, 9, v5
	v_lshlrev_b32_e32 v5, 2, v9
	ds_read_b32 v5, v5 offset:19456
	v_add_u32_e32 v10, 1, v9
	s_waitcnt lgkmcnt(0)
	v_cmp_lt_i32_e32 vcc, v5, v7
	v_cndmask_b32_e32 v5, 0, v10, vcc
	v_cndmask_b32_e32 v9, v9, v1, vcc
	s_or_b64 exec, exec, s[0:1]
	v_cmp_lt_i32_e32 vcc, v5, v9
	s_and_saveexec_b64 s[0:1], vcc
	s_cbranch_execz .LBB27_44
.LBB27_48:
	v_sub_u32_e32 v10, v5, v9
	v_lshl_add_u32 v10, v9, 7, v10
	v_ashrrev_i32_e32 v10, 7, v10
	v_lshlrev_b32_e32 v11, 2, v10
	ds_read_b32 v11, v11 offset:19456
	v_add_u32_e32 v12, 1, v10
	s_waitcnt lgkmcnt(0)
	v_cmp_lt_i32_e32 vcc, v11, v7
	v_cndmask_b32_e32 v5, v5, v12, vcc
	v_cndmask_b32_e32 v9, v10, v9, vcc
	s_or_b64 exec, exec, s[0:1]
	v_cmp_lt_i32_e32 vcc, v5, v9
	s_and_saveexec_b64 s[0:1], vcc
	s_cbranch_execz .LBB27_45
.LBB27_49:
	v_sub_u32_e32 v10, v5, v9
	v_lshl_add_u32 v10, v9, 5, v10
	v_ashrrev_i32_e32 v10, 5, v10
	v_lshlrev_b32_e32 v11, 2, v10
	ds_read_b32 v11, v11 offset:19456
	v_add_u32_e32 v12, 1, v10
	s_waitcnt lgkmcnt(0)
	v_cmp_lt_i32_e32 vcc, v11, v7
	v_cndmask_b32_e32 v5, v5, v12, vcc
	v_cndmask_b32_e32 v9, v10, v9, vcc
	s_or_b64 exec, exec, s[0:1]
	v_cmp_lt_i32_e32 vcc, v5, v9
	s_and_saveexec_b64 s[0:1], vcc
	s_cbranch_execz .LBB27_46
.LBB27_50:
	v_sub_u32_e32 v10, v5, v9
	v_lshl_add_u32 v10, v9, 4, v10
	v_ashrrev_i32_e32 v10, 4, v10
	v_lshlrev_b32_e32 v11, 2, v10
	ds_read_b32 v11, v11 offset:19456
	v_add_u32_e32 v12, 1, v10
	s_waitcnt lgkmcnt(0)
	v_cmp_lt_i32_e32 vcc, v11, v7
	v_cndmask_b32_e32 v5, v5, v12, vcc
	v_cndmask_b32_e32 v9, v10, v9, vcc
	s_or_b64 exec, exec, s[0:1]
	v_cmp_lt_i32_e32 vcc, v5, v9
	s_and_saveexec_b64 s[0:1], vcc
	s_cbranch_execz .LBB27_54
.LBB27_51:
	s_mov_b64 s[4:5], 0
.LBB27_52:                              ; =>This Inner Loop Header: Depth=1
	v_sub_u32_e32 v10, v5, v9
	v_lshl_add_u32 v10, v9, 1, v10
	v_ashrrev_i32_e32 v10, 1, v10
	v_lshlrev_b32_e32 v11, 2, v10
	ds_read_b32 v11, v11 offset:19456
	v_add_u32_e32 v12, 1, v10
	s_waitcnt lgkmcnt(0)
	v_cmp_lt_i32_e32 vcc, v11, v7
	v_cndmask_b32_e32 v5, v5, v12, vcc
	v_cndmask_b32_e32 v9, v10, v9, vcc
	v_cmp_ge_i32_e32 vcc, v5, v9
	s_or_b64 s[4:5], vcc, s[4:5]
	s_andn2_b64 exec, exec, s[4:5]
	s_cbranch_execnz .LBB27_52
; %bb.53:
	s_or_b64 exec, exec, s[4:5]
.LBB27_54:
	s_or_b64 exec, exec, s[0:1]
	v_mov_b32_e32 v9, 0
	v_cmp_lt_i32_e32 vcc, 0, v8
	v_mov_b32_e32 v10, v8
	s_and_saveexec_b64 s[0:1], vcc
	s_cbranch_execnz .LBB27_59
; %bb.55:
	s_or_b64 exec, exec, s[0:1]
	v_cmp_lt_i32_e32 vcc, v9, v10
	s_and_saveexec_b64 s[0:1], vcc
	s_cbranch_execnz .LBB27_60
.LBB27_56:
	s_or_b64 exec, exec, s[0:1]
	v_cmp_lt_i32_e32 vcc, v9, v10
	s_and_saveexec_b64 s[0:1], vcc
	s_cbranch_execnz .LBB27_61
.LBB27_57:
	s_or_b64 exec, exec, s[0:1]
	v_cmp_lt_i32_e32 vcc, v9, v10
	s_and_saveexec_b64 s[0:1], vcc
	s_cbranch_execnz .LBB27_62
.LBB27_58:
	s_or_b64 exec, exec, s[0:1]
	v_cmp_lt_i32_e32 vcc, v9, v10
	s_and_saveexec_b64 s[0:1], vcc
	s_cbranch_execnz .LBB27_63
	s_branch .LBB27_66
.LBB27_59:
	s_movk_i32 s4, 0x1ff
	v_mul_lo_u32 v9, v8, s4
	v_lshrrev_b32_e32 v10, 9, v9
	v_lshl_add_u32 v9, v10, 2, v3
	ds_read_b32 v9, v9 offset:1024
	v_add_u32_e32 v11, 1, v10
	s_waitcnt lgkmcnt(0)
	v_cmp_lt_i32_e32 vcc, v9, v7
	v_cndmask_b32_e32 v9, 0, v11, vcc
	v_cndmask_b32_e32 v10, v10, v8, vcc
	s_or_b64 exec, exec, s[0:1]
	v_cmp_lt_i32_e32 vcc, v9, v10
	s_and_saveexec_b64 s[0:1], vcc
	s_cbranch_execz .LBB27_56
.LBB27_60:
	v_sub_u32_e32 v11, v9, v10
	v_lshl_add_u32 v11, v10, 7, v11
	v_ashrrev_i32_e32 v11, 7, v11
	v_lshl_add_u32 v12, v11, 2, v3
	ds_read_b32 v12, v12 offset:1024
	v_add_u32_e32 v13, 1, v11
	s_waitcnt lgkmcnt(0)
	v_cmp_lt_i32_e32 vcc, v12, v7
	v_cndmask_b32_e32 v9, v9, v13, vcc
	v_cndmask_b32_e32 v10, v11, v10, vcc
	s_or_b64 exec, exec, s[0:1]
	v_cmp_lt_i32_e32 vcc, v9, v10
	s_and_saveexec_b64 s[0:1], vcc
	s_cbranch_execz .LBB27_57
.LBB27_61:
	v_sub_u32_e32 v11, v9, v10
	v_lshl_add_u32 v11, v10, 5, v11
	v_ashrrev_i32_e32 v11, 5, v11
	v_lshl_add_u32 v12, v11, 2, v3
	ds_read_b32 v12, v12 offset:1024
	v_add_u32_e32 v13, 1, v11
	s_waitcnt lgkmcnt(0)
	v_cmp_lt_i32_e32 vcc, v12, v7
	v_cndmask_b32_e32 v9, v9, v13, vcc
	v_cndmask_b32_e32 v10, v11, v10, vcc
	s_or_b64 exec, exec, s[0:1]
	v_cmp_lt_i32_e32 vcc, v9, v10
	s_and_saveexec_b64 s[0:1], vcc
	s_cbranch_execz .LBB27_58
.LBB27_62:
	v_sub_u32_e32 v11, v9, v10
	v_lshl_add_u32 v11, v10, 4, v11
	v_ashrrev_i32_e32 v11, 4, v11
	v_lshl_add_u32 v12, v11, 2, v3
	ds_read_b32 v12, v12 offset:1024
	v_add_u32_e32 v13, 1, v11
	s_waitcnt lgkmcnt(0)
	v_cmp_lt_i32_e32 vcc, v12, v7
	v_cndmask_b32_e32 v9, v9, v13, vcc
	v_cndmask_b32_e32 v10, v11, v10, vcc
	s_or_b64 exec, exec, s[0:1]
	v_cmp_lt_i32_e32 vcc, v9, v10
	s_and_saveexec_b64 s[0:1], vcc
	s_cbranch_execz .LBB27_66
.LBB27_63:
	s_mov_b64 s[4:5], 0
.LBB27_64:                              ; =>This Inner Loop Header: Depth=1
	v_sub_u32_e32 v11, v9, v10
	v_lshl_add_u32 v11, v10, 1, v11
	v_ashrrev_i32_e32 v11, 1, v11
	v_lshl_add_u32 v12, v11, 2, v3
	ds_read_b32 v12, v12 offset:1024
	v_add_u32_e32 v13, 1, v11
	s_waitcnt lgkmcnt(0)
	v_cmp_lt_i32_e32 vcc, v12, v7
	v_cndmask_b32_e32 v9, v9, v13, vcc
	v_cndmask_b32_e32 v10, v11, v10, vcc
	v_cmp_ge_i32_e32 vcc, v9, v10
	s_or_b64 s[4:5], vcc, s[4:5]
	s_andn2_b64 exec, exec, s[4:5]
	s_cbranch_execnz .LBB27_64
; %bb.65:
	s_or_b64 exec, exec, s[4:5]
.LBB27_66:
	s_or_b64 exec, exec, s[0:1]
	v_sub_u32_e32 v1, v1, v5
	v_sub_u32_e32 v10, v8, v9
	v_add_u32_e32 v3, v10, v1
	v_ashrrev_i32_e32 v1, 1, v3
	v_max_i32_e32 v1, v1, v10
	v_add3_u32 v9, v9, v1, 1
	v_min_i32_e32 v9, v9, v19
	v_sub_u32_e32 v9, v9, v8
	v_mov_b32_e32 v8, 0
	v_cmp_lt_i32_e32 vcc, 0, v9
	s_and_saveexec_b64 s[0:1], vcc
	s_cbranch_execz .LBB27_70
; %bb.67:
	v_mov_b32_e32 v8, 0
	s_mov_b64 s[4:5], 0
.LBB27_68:                              ; =>This Inner Loop Header: Depth=1
	v_add_u32_e32 v11, v8, v9
	v_lshrrev_b32_e32 v11, 1, v11
	v_lshl_add_u32 v12, v11, 2, v6
	ds_read_b32 v12, v12 offset:1024
	v_add_u32_e32 v13, 1, v11
	s_waitcnt lgkmcnt(0)
	v_cmp_lt_i32_e32 vcc, v7, v12
	v_cndmask_b32_e32 v8, v13, v8, vcc
	v_cndmask_b32_e32 v9, v9, v11, vcc
	v_cmp_ge_i32_e32 vcc, v8, v9
	s_or_b64 s[4:5], vcc, s[4:5]
	s_andn2_b64 exec, exec, s[4:5]
	s_cbranch_execnz .LBB27_68
; %bb.69:
	s_or_b64 exec, exec, s[4:5]
.LBB27_70:
	s_or_b64 exec, exec, s[0:1]
	v_add_u32_e32 v6, v8, v10
	s_waitcnt lgkmcnt(0)
	v_min_i32_e32 v7, v6, v1
	v_sub_u32_e32 v3, v3, v7
	v_add_u32_e32 v7, 1, v7
	v_cmp_eq_u32_e32 vcc, v3, v7
	v_cmp_lt_i32_e64 s[0:1], v1, v6
	s_and_b64 s[0:1], s[0:1], vcc
	v_cndmask_b32_e64 v6, 0, 1, s[0:1]
	v_add_u32_e32 v1, v3, v5
.LBB27_71:
	s_or_b64 exec, exec, s[2:3]
	v_add_u32_e32 v2, v6, v2
	v_sub_u32_e32 v8, v2, v1
	v_lshlrev_b32_e32 v3, 16, v18
	v_or_b32_e32 v3, v3, v19
	v_lshl_or_b32 v5, v1, 16, v8
	v_subrev_co_u32_e64 v6, s[0:1], 1, v0
	v_cndmask_b32_e64 v3, v5, v3, s[0:1]
	v_mov_b32_e32 v5, 0xff
	v_cndmask_b32_e64 v5, v6, v5, s[0:1]
	v_lshlrev_b32_e32 v5, 2, v5
	ds_write_b32 v5, v3 offset:18432
	v_add_u32_e32 v3, v8, v18
	s_waitcnt lgkmcnt(0)
	s_barrier
	v_lshlrev_b32_e32 v7, 2, v1
	v_lshlrev_b32_e32 v6, 2, v3
	ds_read_b32 v5, v4
	ds_read_b32 v25, v7 offset:19456
	ds_read_b32 v26, v6 offset:19456
	s_waitcnt lgkmcnt(2)
	v_cmp_le_i32_sdwa s[6:7], v5, v8 src0_sel:WORD_0 src1_sel:DWORD
	v_cmp_le_i32_sdwa s[4:5], sext(v5), v1 src0_sel:WORD_1 src1_sel:DWORD
	s_waitcnt lgkmcnt(0)
	v_cmp_lt_i32_e32 vcc, v26, v25
	v_cndmask_b32_e64 v4, 0, 1, vcc
	v_cndmask_b32_e64 v8, 0, 1, s[4:5]
	s_or_b64 s[2:3], s[4:5], s[6:7]
	v_cndmask_b32_e64 v4, v4, v8, s[2:3]
	v_and_b32_e32 v4, 1, v4
	v_cmp_eq_u32_e32 vcc, 1, v4
	s_xor_b64 s[10:11], vcc, -1
	v_mov_b32_e32 v27, v25
	s_and_saveexec_b64 s[8:9], s[10:11]
; %bb.72:
	v_add_u32_e32 v4, 0x4800, v7
	ds_read_b32 v27, v4 offset:1028
	v_add_u32_e32 v1, 1, v1
; %bb.73:
	s_or_b64 exec, exec, s[8:9]
	s_xor_b64 s[8:9], s[4:5], -1
	v_cmp_lt_i32_e64 s[4:5], v25, v26
	v_cndmask_b32_e64 v4, 0, 1, s[4:5]
	s_and_b64 s[4:5], s[6:7], s[8:9]
	v_cndmask_b32_e64 v7, 0, 1, s[4:5]
	v_cndmask_b32_e64 v4, v4, v7, s[2:3]
	v_and_b32_e32 v4, 1, v4
	v_cmp_eq_u32_e64 s[2:3], 1, v4
	s_xor_b64 s[6:7], s[2:3], -1
	v_mov_b32_e32 v28, v26
	s_and_saveexec_b64 s[4:5], s[6:7]
; %bb.74:
	v_add_u32_e32 v4, 0x4800, v6
	ds_read_b32 v28, v4 offset:1028
	v_add_u32_e32 v3, 1, v3
; %bb.75:
	s_or_b64 exec, exec, s[4:5]
	v_add_u32_sdwa v8, v5, v18 dst_sel:DWORD dst_unused:UNUSED_PAD src0_sel:WORD_0 src1_sel:DWORD
	v_cmp_ge_i32_e64 s[4:5], v3, v8
	v_cmp_ge_i32_sdwa s[8:9], v1, sext(v5) src0_sel:DWORD src1_sel:WORD_1
	s_waitcnt lgkmcnt(0)
	v_cmp_lt_i32_e64 s[6:7], v28, v27
	v_cndmask_b32_e64 v4, 0, 1, s[8:9]
	v_cndmask_b32_e64 v6, 0, 1, s[6:7]
	s_or_b64 s[6:7], s[8:9], s[4:5]
	v_cndmask_b32_e64 v4, v6, v4, s[6:7]
	v_and_b32_e32 v4, 1, v4
	v_cmp_eq_u32_e64 s[36:37], 1, v4
	s_xor_b64 s[10:11], s[36:37], -1
	v_mov_b32_e32 v29, v27
	v_mov_b32_e32 v4, v1
	s_and_saveexec_b64 s[6:7], s[10:11]
; %bb.76:
	v_lshlrev_b32_e32 v4, 2, v1
	ds_read_b32 v29, v4 offset:19460
	v_add_u32_e32 v4, 1, v1
; %bb.77:
	s_or_b64 exec, exec, s[6:7]
	v_cmp_lt_i32_e64 s[6:7], v27, v28
	s_or_b64 s[4:5], s[4:5], s[6:7]
	s_xor_b64 s[6:7], s[8:9], -1
	s_and_b64 s[4:5], s[6:7], s[4:5]
	s_xor_b64 s[8:9], s[4:5], -1
	v_mov_b32_e32 v30, v28
	v_mov_b32_e32 v6, v3
	s_and_saveexec_b64 s[6:7], s[8:9]
; %bb.78:
	v_lshlrev_b32_e32 v6, 2, v3
	ds_read_b32 v30, v6 offset:19460
	v_add_u32_e32 v6, 1, v3
; %bb.79:
	s_or_b64 exec, exec, s[6:7]
	v_cmp_ge_i32_e64 s[6:7], v6, v8
	v_cmp_ge_i32_sdwa s[10:11], v4, sext(v5) src0_sel:DWORD src1_sel:WORD_1
	s_waitcnt lgkmcnt(0)
	v_cmp_lt_i32_e64 s[8:9], v30, v29
	v_cndmask_b32_e64 v7, 0, 1, s[10:11]
	v_cndmask_b32_e64 v9, 0, 1, s[8:9]
	s_or_b64 s[8:9], s[10:11], s[6:7]
	v_cndmask_b32_e64 v7, v9, v7, s[8:9]
	v_and_b32_e32 v7, 1, v7
	v_cmp_eq_u32_e64 s[38:39], 1, v7
	s_xor_b64 s[12:13], s[38:39], -1
	v_mov_b32_e32 v31, v29
	v_mov_b32_e32 v7, v4
	s_and_saveexec_b64 s[8:9], s[12:13]
; %bb.80:
	v_lshlrev_b32_e32 v7, 2, v4
	ds_read_b32 v31, v7 offset:19460
	v_add_u32_e32 v7, 1, v4
; %bb.81:
	s_or_b64 exec, exec, s[8:9]
	v_cmp_lt_i32_e64 s[8:9], v29, v30
	s_or_b64 s[6:7], s[6:7], s[8:9]
	s_xor_b64 s[8:9], s[10:11], -1
	s_and_b64 s[6:7], s[8:9], s[6:7]
	s_xor_b64 s[10:11], s[6:7], -1
	v_mov_b32_e32 v32, v30
	v_mov_b32_e32 v9, v6
	s_and_saveexec_b64 s[8:9], s[10:11]
; %bb.82:
	v_lshlrev_b32_e32 v9, 2, v6
	ds_read_b32 v32, v9 offset:19460
	v_add_u32_e32 v9, 1, v6
; %bb.83:
	s_or_b64 exec, exec, s[8:9]
	v_cmp_ge_i32_e64 s[8:9], v9, v8
	v_cmp_ge_i32_sdwa s[12:13], v7, sext(v5) src0_sel:DWORD src1_sel:WORD_1
	s_waitcnt lgkmcnt(0)
	v_cmp_lt_i32_e64 s[10:11], v32, v31
	v_cndmask_b32_e64 v10, 0, 1, s[12:13]
	v_cndmask_b32_e64 v11, 0, 1, s[10:11]
	s_or_b64 s[10:11], s[12:13], s[8:9]
	v_cndmask_b32_e64 v10, v11, v10, s[10:11]
	v_and_b32_e32 v10, 1, v10
	v_cmp_eq_u32_e64 s[40:41], 1, v10
	s_xor_b64 s[14:15], s[40:41], -1
	v_mov_b32_e32 v33, v31
	v_mov_b32_e32 v10, v7
	s_and_saveexec_b64 s[10:11], s[14:15]
; %bb.84:
	v_lshlrev_b32_e32 v10, 2, v7
	ds_read_b32 v33, v10 offset:19460
	v_add_u32_e32 v10, 1, v7
; %bb.85:
	s_or_b64 exec, exec, s[10:11]
	v_cmp_lt_i32_e64 s[10:11], v31, v32
	s_or_b64 s[8:9], s[8:9], s[10:11]
	s_xor_b64 s[10:11], s[12:13], -1
	s_and_b64 s[8:9], s[10:11], s[8:9]
	s_xor_b64 s[12:13], s[8:9], -1
	v_mov_b32_e32 v34, v32
	v_mov_b32_e32 v11, v9
	s_and_saveexec_b64 s[10:11], s[12:13]
; %bb.86:
	v_lshlrev_b32_e32 v11, 2, v9
	ds_read_b32 v34, v11 offset:19460
	v_add_u32_e32 v11, 1, v9
; %bb.87:
	s_or_b64 exec, exec, s[10:11]
	v_cmp_ge_i32_e64 s[10:11], v11, v8
	v_cmp_ge_i32_sdwa s[14:15], v10, sext(v5) src0_sel:DWORD src1_sel:WORD_1
	s_waitcnt lgkmcnt(0)
	v_cmp_lt_i32_e64 s[12:13], v34, v33
	v_cndmask_b32_e64 v12, 0, 1, s[14:15]
	v_cndmask_b32_e64 v13, 0, 1, s[12:13]
	s_or_b64 s[12:13], s[14:15], s[10:11]
	v_cndmask_b32_e64 v12, v13, v12, s[12:13]
	v_and_b32_e32 v12, 1, v12
	v_cmp_eq_u32_e64 s[42:43], 1, v12
	s_xor_b64 s[16:17], s[42:43], -1
	v_mov_b32_e32 v35, v33
	v_mov_b32_e32 v12, v10
	s_and_saveexec_b64 s[12:13], s[16:17]
; %bb.88:
	v_lshlrev_b32_e32 v12, 2, v10
	ds_read_b32 v35, v12 offset:19460
	v_add_u32_e32 v12, 1, v10
; %bb.89:
	s_or_b64 exec, exec, s[12:13]
	v_cmp_lt_i32_e64 s[12:13], v33, v34
	s_or_b64 s[10:11], s[10:11], s[12:13]
	s_xor_b64 s[12:13], s[14:15], -1
	s_and_b64 s[10:11], s[12:13], s[10:11]
	s_xor_b64 s[14:15], s[10:11], -1
	v_mov_b32_e32 v36, v34
	v_mov_b32_e32 v13, v11
	s_and_saveexec_b64 s[12:13], s[14:15]
; %bb.90:
	v_lshlrev_b32_e32 v13, 2, v11
	ds_read_b32 v36, v13 offset:19460
	v_add_u32_e32 v13, 1, v11
; %bb.91:
	s_or_b64 exec, exec, s[12:13]
	v_cmp_ge_i32_e64 s[12:13], v13, v8
	v_cmp_ge_i32_sdwa s[16:17], v12, sext(v5) src0_sel:DWORD src1_sel:WORD_1
	s_waitcnt lgkmcnt(0)
	v_cmp_lt_i32_e64 s[14:15], v36, v35
	v_cndmask_b32_e64 v14, 0, 1, s[16:17]
	v_cndmask_b32_e64 v15, 0, 1, s[14:15]
	s_or_b64 s[14:15], s[16:17], s[12:13]
	v_cndmask_b32_e64 v14, v15, v14, s[14:15]
	v_and_b32_e32 v14, 1, v14
	v_cmp_eq_u32_e64 s[44:45], 1, v14
	s_xor_b64 s[18:19], s[44:45], -1
	v_mov_b32_e32 v37, v35
	v_mov_b32_e32 v14, v12
	s_and_saveexec_b64 s[14:15], s[18:19]
; %bb.92:
	v_lshlrev_b32_e32 v14, 2, v12
	ds_read_b32 v37, v14 offset:19460
	v_add_u32_e32 v14, 1, v12
; %bb.93:
	s_or_b64 exec, exec, s[14:15]
	v_cmp_lt_i32_e64 s[14:15], v35, v36
	s_or_b64 s[12:13], s[12:13], s[14:15]
	s_xor_b64 s[14:15], s[16:17], -1
	s_and_b64 s[12:13], s[14:15], s[12:13]
	s_xor_b64 s[16:17], s[12:13], -1
	v_mov_b32_e32 v38, v36
	v_mov_b32_e32 v15, v13
	s_and_saveexec_b64 s[14:15], s[16:17]
; %bb.94:
	v_lshlrev_b32_e32 v15, 2, v13
	ds_read_b32 v38, v15 offset:19460
	v_add_u32_e32 v15, 1, v13
; %bb.95:
	s_or_b64 exec, exec, s[14:15]
	v_cmp_ge_i32_e64 s[14:15], v15, v8
	v_cmp_ge_i32_sdwa s[18:19], v14, sext(v5) src0_sel:DWORD src1_sel:WORD_1
	s_waitcnt lgkmcnt(0)
	v_cmp_lt_i32_e64 s[16:17], v38, v37
	v_cndmask_b32_e64 v16, 0, 1, s[18:19]
	v_cndmask_b32_e64 v17, 0, 1, s[16:17]
	s_or_b64 s[16:17], s[18:19], s[14:15]
	v_cndmask_b32_e64 v16, v17, v16, s[16:17]
	v_and_b32_e32 v16, 1, v16
	v_cmp_eq_u32_e64 s[46:47], 1, v16
	s_xor_b64 s[20:21], s[46:47], -1
	v_mov_b32_e32 v39, v37
	v_mov_b32_e32 v16, v14
	s_and_saveexec_b64 s[16:17], s[20:21]
; %bb.96:
	v_lshlrev_b32_e32 v16, 2, v14
	ds_read_b32 v39, v16 offset:19460
	v_add_u32_e32 v16, 1, v14
; %bb.97:
	s_or_b64 exec, exec, s[16:17]
	v_cmp_lt_i32_e64 s[16:17], v37, v38
	s_or_b64 s[14:15], s[14:15], s[16:17]
	s_xor_b64 s[16:17], s[18:19], -1
	s_and_b64 s[14:15], s[16:17], s[14:15]
	s_xor_b64 s[18:19], s[14:15], -1
	v_mov_b32_e32 v40, v38
	v_mov_b32_e32 v17, v15
	s_and_saveexec_b64 s[16:17], s[18:19]
; %bb.98:
	v_lshlrev_b32_e32 v17, 2, v15
	ds_read_b32 v40, v17 offset:19460
	v_add_u32_e32 v17, 1, v15
; %bb.99:
	s_or_b64 exec, exec, s[16:17]
	v_cmp_ge_i32_e64 s[16:17], v17, v8
	v_cmp_ge_i32_sdwa s[20:21], v16, sext(v5) src0_sel:DWORD src1_sel:WORD_1
	s_waitcnt lgkmcnt(0)
	v_cmp_lt_i32_e64 s[18:19], v40, v39
	v_cndmask_b32_e64 v41, 0, 1, s[20:21]
	v_cndmask_b32_e64 v42, 0, 1, s[18:19]
	s_or_b64 s[18:19], s[20:21], s[16:17]
	v_cndmask_b32_e64 v41, v42, v41, s[18:19]
	v_and_b32_e32 v41, 1, v41
	v_cmp_eq_u32_e64 s[48:49], 1, v41
	s_xor_b64 s[22:23], s[48:49], -1
	v_mov_b32_e32 v41, v39
	v_mov_b32_e32 v57, v16
	s_and_saveexec_b64 s[18:19], s[22:23]
; %bb.100:
	v_lshlrev_b32_e32 v41, 2, v16
	ds_read_b32 v41, v41 offset:19460
	v_add_u32_e32 v57, 1, v16
; %bb.101:
	s_or_b64 exec, exec, s[18:19]
	v_cmp_lt_i32_e64 s[18:19], v39, v40
	s_or_b64 s[16:17], s[16:17], s[18:19]
	s_xor_b64 s[18:19], s[20:21], -1
	s_and_b64 s[16:17], s[18:19], s[16:17]
	s_xor_b64 s[20:21], s[16:17], -1
	v_mov_b32_e32 v42, v40
	v_mov_b32_e32 v58, v17
	s_and_saveexec_b64 s[18:19], s[20:21]
; %bb.102:
	v_lshlrev_b32_e32 v42, 2, v17
	ds_read_b32 v42, v42 offset:19460
	v_add_u32_e32 v58, 1, v17
; %bb.103:
	s_or_b64 exec, exec, s[18:19]
	v_cmp_ge_i32_e64 s[18:19], v58, v8
	v_cmp_ge_i32_sdwa s[22:23], v57, sext(v5) src0_sel:DWORD src1_sel:WORD_1
	s_waitcnt lgkmcnt(0)
	v_cmp_lt_i32_e64 s[20:21], v42, v41
	v_cndmask_b32_e64 v43, 0, 1, s[22:23]
	v_cndmask_b32_e64 v44, 0, 1, s[20:21]
	s_or_b64 s[20:21], s[22:23], s[18:19]
	v_cndmask_b32_e64 v43, v44, v43, s[20:21]
	v_and_b32_e32 v43, 1, v43
	v_cmp_eq_u32_e64 s[50:51], 1, v43
	s_xor_b64 s[24:25], s[50:51], -1
	v_mov_b32_e32 v43, v41
	v_mov_b32_e32 v59, v57
	s_and_saveexec_b64 s[20:21], s[24:25]
; %bb.104:
	v_lshlrev_b32_e32 v43, 2, v57
	ds_read_b32 v43, v43 offset:19460
	v_add_u32_e32 v59, 1, v57
; %bb.105:
	s_or_b64 exec, exec, s[20:21]
	v_cmp_lt_i32_e64 s[20:21], v41, v42
	s_or_b64 s[18:19], s[18:19], s[20:21]
	s_xor_b64 s[20:21], s[22:23], -1
	s_and_b64 s[18:19], s[20:21], s[18:19]
	s_xor_b64 s[22:23], s[18:19], -1
	v_mov_b32_e32 v44, v42
	v_mov_b32_e32 v60, v58
	s_and_saveexec_b64 s[20:21], s[22:23]
; %bb.106:
	v_lshlrev_b32_e32 v44, 2, v58
	ds_read_b32 v44, v44 offset:19460
	v_add_u32_e32 v60, 1, v58
; %bb.107:
	s_or_b64 exec, exec, s[20:21]
	v_cmp_ge_i32_e64 s[20:21], v60, v8
	v_cmp_ge_i32_sdwa s[24:25], v59, sext(v5) src0_sel:DWORD src1_sel:WORD_1
	s_waitcnt lgkmcnt(0)
	v_cmp_lt_i32_e64 s[22:23], v44, v43
	v_cndmask_b32_e64 v45, 0, 1, s[24:25]
	v_cndmask_b32_e64 v46, 0, 1, s[22:23]
	s_or_b64 s[22:23], s[24:25], s[20:21]
	v_cndmask_b32_e64 v45, v46, v45, s[22:23]
	v_and_b32_e32 v45, 1, v45
	v_cmp_eq_u32_e64 s[52:53], 1, v45
	s_xor_b64 s[26:27], s[52:53], -1
	v_mov_b32_e32 v45, v43
	v_mov_b32_e32 v61, v59
	s_and_saveexec_b64 s[22:23], s[26:27]
; %bb.108:
	v_lshlrev_b32_e32 v45, 2, v59
	ds_read_b32 v45, v45 offset:19460
	v_add_u32_e32 v61, 1, v59
; %bb.109:
	s_or_b64 exec, exec, s[22:23]
	v_cmp_lt_i32_e64 s[22:23], v43, v44
	s_or_b64 s[20:21], s[20:21], s[22:23]
	s_xor_b64 s[22:23], s[24:25], -1
	s_and_b64 s[20:21], s[22:23], s[20:21]
	s_xor_b64 s[24:25], s[20:21], -1
	v_mov_b32_e32 v46, v44
	v_mov_b32_e32 v62, v60
	s_and_saveexec_b64 s[22:23], s[24:25]
; %bb.110:
	v_lshlrev_b32_e32 v46, 2, v60
	ds_read_b32 v46, v46 offset:19460
	v_add_u32_e32 v62, 1, v60
; %bb.111:
	s_or_b64 exec, exec, s[22:23]
	v_cmp_ge_i32_e64 s[22:23], v62, v8
	v_cmp_ge_i32_sdwa s[26:27], v61, sext(v5) src0_sel:DWORD src1_sel:WORD_1
	s_waitcnt lgkmcnt(0)
	v_cmp_lt_i32_e64 s[24:25], v46, v45
	v_cndmask_b32_e64 v47, 0, 1, s[26:27]
	v_cndmask_b32_e64 v48, 0, 1, s[24:25]
	s_or_b64 s[24:25], s[26:27], s[22:23]
	v_cndmask_b32_e64 v47, v48, v47, s[24:25]
	v_and_b32_e32 v47, 1, v47
	v_cmp_eq_u32_e64 s[54:55], 1, v47
	s_xor_b64 s[28:29], s[54:55], -1
	v_mov_b32_e32 v47, v45
	v_mov_b32_e32 v63, v61
	s_and_saveexec_b64 s[24:25], s[28:29]
; %bb.112:
	v_lshlrev_b32_e32 v47, 2, v61
	ds_read_b32 v47, v47 offset:19460
	v_add_u32_e32 v63, 1, v61
; %bb.113:
	s_or_b64 exec, exec, s[24:25]
	v_cmp_lt_i32_e64 s[24:25], v45, v46
	s_or_b64 s[22:23], s[22:23], s[24:25]
	s_xor_b64 s[24:25], s[26:27], -1
	s_and_b64 s[22:23], s[24:25], s[22:23]
	s_xor_b64 s[26:27], s[22:23], -1
	v_mov_b32_e32 v48, v46
	v_mov_b32_e32 v64, v62
	s_and_saveexec_b64 s[24:25], s[26:27]
; %bb.114:
	v_lshlrev_b32_e32 v48, 2, v62
	ds_read_b32 v48, v48 offset:19460
	v_add_u32_e32 v64, 1, v62
; %bb.115:
	s_or_b64 exec, exec, s[24:25]
	v_cmp_ge_i32_e64 s[24:25], v64, v8
	v_cmp_ge_i32_sdwa s[28:29], v63, sext(v5) src0_sel:DWORD src1_sel:WORD_1
	s_waitcnt lgkmcnt(0)
	v_cmp_lt_i32_e64 s[26:27], v48, v47
	v_cndmask_b32_e64 v49, 0, 1, s[28:29]
	v_cndmask_b32_e64 v50, 0, 1, s[26:27]
	s_or_b64 s[26:27], s[28:29], s[24:25]
	v_cndmask_b32_e64 v49, v50, v49, s[26:27]
	v_and_b32_e32 v49, 1, v49
	v_cmp_eq_u32_e64 s[56:57], 1, v49
	s_xor_b64 s[30:31], s[56:57], -1
	v_mov_b32_e32 v49, v47
	v_mov_b32_e32 v65, v63
	s_and_saveexec_b64 s[26:27], s[30:31]
; %bb.116:
	v_lshlrev_b32_e32 v49, 2, v63
	ds_read_b32 v49, v49 offset:19460
	v_add_u32_e32 v65, 1, v63
; %bb.117:
	s_or_b64 exec, exec, s[26:27]
	v_cmp_lt_i32_e64 s[26:27], v47, v48
	s_or_b64 s[24:25], s[24:25], s[26:27]
	s_xor_b64 s[26:27], s[28:29], -1
	s_and_b64 s[24:25], s[26:27], s[24:25]
	s_xor_b64 s[28:29], s[24:25], -1
	v_mov_b32_e32 v50, v48
	v_mov_b32_e32 v66, v64
	s_and_saveexec_b64 s[26:27], s[28:29]
; %bb.118:
	v_lshlrev_b32_e32 v50, 2, v64
	ds_read_b32 v50, v50 offset:19460
	v_add_u32_e32 v66, 1, v64
; %bb.119:
	s_or_b64 exec, exec, s[26:27]
	v_cmp_ge_i32_e64 s[26:27], v66, v8
	v_cmp_ge_i32_sdwa s[30:31], v65, sext(v5) src0_sel:DWORD src1_sel:WORD_1
	s_waitcnt lgkmcnt(0)
	v_cmp_lt_i32_e64 s[28:29], v50, v49
	v_cndmask_b32_e64 v51, 0, 1, s[30:31]
	v_cndmask_b32_e64 v52, 0, 1, s[28:29]
	s_or_b64 s[28:29], s[30:31], s[26:27]
	v_cndmask_b32_e64 v51, v52, v51, s[28:29]
	v_and_b32_e32 v51, 1, v51
	v_cmp_eq_u32_e64 s[58:59], 1, v51
	s_xor_b64 s[34:35], s[58:59], -1
	v_mov_b32_e32 v51, v49
	v_mov_b32_e32 v67, v65
	s_and_saveexec_b64 s[28:29], s[34:35]
; %bb.120:
	v_lshlrev_b32_e32 v51, 2, v65
	ds_read_b32 v51, v51 offset:19460
	v_add_u32_e32 v67, 1, v65
; %bb.121:
	s_or_b64 exec, exec, s[28:29]
	v_cmp_lt_i32_e64 s[28:29], v49, v50
	s_or_b64 s[26:27], s[26:27], s[28:29]
	s_xor_b64 s[28:29], s[30:31], -1
	s_and_b64 s[26:27], s[28:29], s[26:27]
	s_xor_b64 s[30:31], s[26:27], -1
	v_mov_b32_e32 v52, v50
	v_mov_b32_e32 v68, v66
	s_and_saveexec_b64 s[28:29], s[30:31]
; %bb.122:
	v_lshlrev_b32_e32 v52, 2, v66
	ds_read_b32 v52, v52 offset:19460
	v_add_u32_e32 v68, 1, v66
; %bb.123:
	s_or_b64 exec, exec, s[28:29]
	v_cmp_ge_i32_e64 s[28:29], v68, v8
	v_cmp_ge_i32_sdwa s[34:35], v67, sext(v5) src0_sel:DWORD src1_sel:WORD_1
	s_waitcnt lgkmcnt(0)
	v_cmp_lt_i32_e64 s[30:31], v52, v51
	v_cndmask_b32_e64 v53, 0, 1, s[34:35]
	v_cndmask_b32_e64 v54, 0, 1, s[30:31]
	s_or_b64 s[30:31], s[34:35], s[28:29]
	v_cndmask_b32_e64 v53, v54, v53, s[30:31]
	v_and_b32_e32 v53, 1, v53
	v_cmp_eq_u32_e64 s[60:61], 1, v53
	s_xor_b64 s[62:63], s[60:61], -1
	v_mov_b32_e32 v53, v51
	v_mov_b32_e32 v69, v67
	s_and_saveexec_b64 s[30:31], s[62:63]
; %bb.124:
	v_lshlrev_b32_e32 v53, 2, v67
	ds_read_b32 v53, v53 offset:19460
	v_add_u32_e32 v69, 1, v67
; %bb.125:
	s_or_b64 exec, exec, s[30:31]
	v_cmp_lt_i32_e64 s[30:31], v51, v52
	s_or_b64 s[28:29], s[28:29], s[30:31]
	s_xor_b64 s[30:31], s[34:35], -1
	s_and_b64 s[28:29], s[30:31], s[28:29]
	s_xor_b64 s[34:35], s[28:29], -1
	v_mov_b32_e32 v54, v52
	v_mov_b32_e32 v70, v68
	s_and_saveexec_b64 s[30:31], s[34:35]
; %bb.126:
	v_lshlrev_b32_e32 v54, 2, v68
	ds_read_b32 v54, v54 offset:19460
	v_add_u32_e32 v70, 1, v68
; %bb.127:
	s_or_b64 exec, exec, s[30:31]
	v_cmp_ge_i32_e64 s[30:31], v70, v8
	v_cmp_ge_i32_sdwa s[64:65], v69, sext(v5) src0_sel:DWORD src1_sel:WORD_1
	s_waitcnt lgkmcnt(0)
	v_cmp_lt_i32_e64 s[34:35], v54, v53
	v_cndmask_b32_e64 v55, 0, 1, s[64:65]
	v_cndmask_b32_e64 v56, 0, 1, s[34:35]
	s_or_b64 s[34:35], s[64:65], s[30:31]
	v_cndmask_b32_e64 v55, v56, v55, s[34:35]
	v_and_b32_e32 v55, 1, v55
	v_cmp_eq_u32_e64 s[62:63], 1, v55
	s_xor_b64 s[66:67], s[62:63], -1
	v_mov_b32_e32 v55, v53
	v_mov_b32_e32 v71, v69
	s_and_saveexec_b64 s[34:35], s[66:67]
; %bb.128:
	v_lshlrev_b32_e32 v55, 2, v69
	ds_read_b32 v55, v55 offset:19460
	v_add_u32_e32 v71, 1, v69
; %bb.129:
	s_or_b64 exec, exec, s[34:35]
	v_cmp_lt_i32_e64 s[34:35], v53, v54
	s_or_b64 s[30:31], s[30:31], s[34:35]
	s_xor_b64 s[34:35], s[64:65], -1
	s_and_b64 s[30:31], s[34:35], s[30:31]
	s_xor_b64 s[64:65], s[30:31], -1
	v_mov_b32_e32 v56, v54
	v_mov_b32_e32 v72, v70
	s_and_saveexec_b64 s[34:35], s[64:65]
; %bb.130:
	v_lshlrev_b32_e32 v56, 2, v70
	ds_read_b32 v56, v56 offset:19460
	v_add_u32_e32 v72, 1, v70
; %bb.131:
	s_or_b64 exec, exec, s[34:35]
	v_cmp_ge_i32_e64 s[34:35], v72, v8
	v_cmp_ge_i32_sdwa s[78:79], v71, sext(v5) src0_sel:DWORD src1_sel:WORD_1
	s_waitcnt lgkmcnt(0)
	v_cmp_lt_i32_e64 s[66:67], v56, v55
	v_cndmask_b32_e64 v73, 0, 1, s[78:79]
	v_cndmask_b32_e64 v74, 0, 1, s[66:67]
	s_or_b64 s[66:67], s[78:79], s[34:35]
	v_cmp_lt_i32_e64 s[64:65], v55, v56
	v_cndmask_b32_e64 v73, v74, v73, s[66:67]
	v_cmp_lt_i32_sdwa s[76:77], v71, sext(v5) src0_sel:DWORD src1_sel:WORD_1
	v_and_b32_e32 v73, 1, v73
	s_or_b64 s[34:35], s[34:35], s[64:65]
	v_cmp_eq_u32_e64 s[66:67], 1, v73
	s_and_b64 s[34:35], s[76:77], s[34:35]
	v_add_u32_e32 v71, v72, v71
	v_add_u32_sdwa v5, v8, sext(v5) dst_sel:DWORD dst_unused:UNUSED_PAD src0_sel:DWORD src1_sel:WORD_1
	v_cmp_lt_i32_e64 s[64:65], v71, v5
	s_xor_b64 s[66:67], s[66:67], s[34:35]
	v_mov_b32_e32 v8, 0x8000
	s_and_b64 s[64:65], s[64:65], s[66:67]
	v_add_u32_e32 v69, v70, v69
	v_cndmask_b32_e64 v8, 0, v8, s[64:65]
	v_cmp_lt_i32_e64 s[64:65], v69, v5
	s_xor_b64 s[62:63], s[62:63], s[30:31]
	v_mov_b32_e32 v69, 0x4000
	s_and_b64 s[62:63], s[64:65], s[62:63]
	v_add_u32_e32 v67, v68, v67
	v_cndmask_b32_e64 v69, 0, v69, s[62:63]
	;; [unrolled: 6-line block ×9, first 2 shown]
	v_cmp_lt_i32_e64 s[48:49], v14, v5
	s_xor_b64 s[46:47], s[46:47], s[14:15]
	s_and_b64 s[46:47], s[48:49], s[46:47]
	v_add_u32_e32 v12, v13, v12
	v_cndmask_b32_e64 v14, 0, 64, s[46:47]
	v_cmp_lt_i32_e64 s[46:47], v12, v5
	s_xor_b64 s[44:45], s[44:45], s[12:13]
	v_add_u32_e32 v10, v11, v10
	s_and_b64 s[46:47], s[46:47], s[44:45]
	v_cmp_lt_i32_e64 s[44:45], v10, v5
	s_xor_b64 s[42:43], s[42:43], s[10:11]
	v_add_u32_e32 v7, v9, v7
	s_and_b64 s[44:45], s[44:45], s[42:43]
	v_cmp_lt_i32_e64 s[42:43], v7, v5
	s_xor_b64 s[40:41], s[40:41], s[8:9]
	v_add_u32_e32 v4, v6, v4
	s_and_b64 s[42:43], s[42:43], s[40:41]
	v_cmp_lt_i32_e64 s[40:41], v4, v5
	s_xor_b64 s[38:39], s[38:39], s[6:7]
	v_add_u32_e32 v1, v3, v1
	s_and_b64 s[40:41], s[40:41], s[38:39]
	v_cmp_lt_i32_e64 s[38:39], v1, v5
	s_xor_b64 s[36:37], s[36:37], s[4:5]
	v_add_u32_e32 v2, v2, v18
	s_and_b64 s[48:49], s[38:39], s[36:37]
	v_cmp_lt_i32_e64 s[36:37], v2, v5
	s_xor_b64 s[38:39], vcc, s[2:3]
	s_and_b64 s[50:51], s[36:37], s[38:39]
	v_cndmask_b32_e64 v4, 0, 4, s[40:41]
	v_cndmask_b32_e64 v1, 0, 2, s[48:49]
	;; [unrolled: 1-line block ×5, first 2 shown]
	v_or3_b32 v1, v1, v2, v4
	v_cndmask_b32_e64 v12, 0, 32, s[46:47]
	v_or3_b32 v1, v1, v7, v10
	v_or3_b32 v62, v1, v12, v14
	v_or_b32_e32 v61, v16, v62
	v_or3_b32 v60, v57, v59, v61
	v_or3_b32 v59, v64, v63, v60
	;; [unrolled: 1-line block ×4, first 2 shown]
	v_bcnt_u32_b32 v9, v57, 0
	s_cmp_lg_u32 s74, 0
	v_mov_b32_e32 v10, 0
	s_barrier
	s_cbranch_scc0 .LBB27_185
; %bb.132:
	v_mbcnt_lo_u32_b32 v1, -1, 0
	v_mbcnt_hi_u32_b32 v16, -1, v1
	v_and_b32_e32 v6, 15, v16
	v_mov_b32_e32 v3, v9
	v_mov_b32_dpp v1, v9 row_shr:1 row_mask:0xf bank_mask:0xf
	v_mov_b32_dpp v7, v10 row_shr:1 row_mask:0xf bank_mask:0xf
	v_cmp_ne_u32_e32 vcc, 0, v6
	v_mov_b32_e32 v5, v9
	v_mov_b32_e32 v2, v10
	;; [unrolled: 1-line block ×3, first 2 shown]
	s_and_saveexec_b64 s[36:37], vcc
; %bb.133:
	v_add_co_u32_e32 v5, vcc, v1, v9
	v_addc_co_u32_e64 v2, s[38:39], 0, 0, vcc
	v_add_co_u32_e32 v1, vcc, 0, v5
	v_addc_co_u32_e32 v2, vcc, v7, v2, vcc
	v_mov_b32_e32 v4, v2
	v_mov_b32_e32 v3, v1
; %bb.134:
	s_or_b64 exec, exec, s[36:37]
	v_mov_b32_dpp v1, v5 row_shr:2 row_mask:0xf bank_mask:0xf
	v_mov_b32_dpp v7, v2 row_shr:2 row_mask:0xf bank_mask:0xf
	v_cmp_lt_u32_e32 vcc, 1, v6
	s_and_saveexec_b64 s[36:37], vcc
; %bb.135:
	v_add_co_u32_e32 v5, vcc, v3, v1
	v_addc_co_u32_e32 v2, vcc, 0, v4, vcc
	v_add_co_u32_e32 v1, vcc, 0, v5
	v_addc_co_u32_e32 v2, vcc, v7, v2, vcc
	v_mov_b32_e32 v4, v2
	v_mov_b32_e32 v3, v1
; %bb.136:
	s_or_b64 exec, exec, s[36:37]
	v_mov_b32_dpp v1, v5 row_shr:4 row_mask:0xf bank_mask:0xf
	v_mov_b32_dpp v7, v2 row_shr:4 row_mask:0xf bank_mask:0xf
	v_cmp_lt_u32_e32 vcc, 3, v6
	s_and_saveexec_b64 s[36:37], vcc
; %bb.137:
	v_add_co_u32_e32 v5, vcc, v3, v1
	v_addc_co_u32_e32 v2, vcc, 0, v4, vcc
	;; [unrolled: 13-line block ×3, first 2 shown]
	v_add_co_u32_e32 v1, vcc, 0, v5
	v_addc_co_u32_e32 v2, vcc, v7, v2, vcc
	v_mov_b32_e32 v4, v2
	v_mov_b32_e32 v3, v1
; %bb.140:
	s_or_b64 exec, exec, s[36:37]
	v_and_b32_e32 v7, 16, v16
	v_mov_b32_dpp v1, v5 row_bcast:15 row_mask:0xf bank_mask:0xf
	v_mov_b32_dpp v6, v2 row_bcast:15 row_mask:0xf bank_mask:0xf
	v_cmp_ne_u32_e32 vcc, 0, v7
	s_and_saveexec_b64 s[36:37], vcc
; %bb.141:
	v_add_co_u32_e32 v5, vcc, v3, v1
	v_addc_co_u32_e32 v2, vcc, 0, v4, vcc
	v_add_co_u32_e32 v1, vcc, 0, v5
	v_addc_co_u32_e32 v2, vcc, v6, v2, vcc
	v_mov_b32_e32 v4, v2
	v_mov_b32_e32 v3, v1
; %bb.142:
	s_or_b64 exec, exec, s[36:37]
	v_mov_b32_dpp v7, v5 row_bcast:31 row_mask:0xf bank_mask:0xf
	v_add_co_u32_e64 v7, s[36:37], v3, v7
	v_lshrrev_b32_e32 v6, 6, v0
	v_mov_b32_dpp v1, v2 row_bcast:31 row_mask:0xf bank_mask:0xf
	v_addc_co_u32_e64 v2, s[36:37], 0, v4, s[36:37]
	v_or_b32_e32 v8, 63, v0
	v_cmp_lt_u32_e32 vcc, 31, v16
	v_cmp_eq_u32_e64 s[36:37], v0, v8
	v_lshlrev_b32_e32 v6, 3, v6
	s_and_saveexec_b64 s[38:39], s[36:37]
; %bb.143:
	v_add_co_u32_e64 v8, s[36:37], 0, v7
	v_addc_co_u32_e64 v1, s[36:37], v1, v2, s[36:37]
	v_cndmask_b32_e32 v2, v4, v1, vcc
	v_cndmask_b32_e32 v1, v3, v8, vcc
	ds_write_b64 v6, v[1:2] offset:18432
; %bb.144:
	s_or_b64 exec, exec, s[38:39]
	v_cmp_gt_u32_e64 s[36:37], 4, v0
	s_waitcnt lgkmcnt(0)
	s_barrier
	s_and_saveexec_b64 s[38:39], s[36:37]
	s_cbranch_execz .LBB27_148
; %bb.145:
	v_lshlrev_b32_e32 v3, 3, v0
	ds_read_b64 v[1:2], v3 offset:18432
	v_and_b32_e32 v4, 3, v16
	v_or_b32_e32 v3, 0x4800, v3
	v_cmp_ne_u32_e64 s[36:37], 0, v4
	s_waitcnt lgkmcnt(0)
	v_mov_b32_dpp v12, v1 row_shr:1 row_mask:0xf bank_mask:0xf
	v_mov_b32_dpp v11, v2 row_shr:1 row_mask:0xf bank_mask:0xf
	v_mov_b32_e32 v8, v1
	s_and_saveexec_b64 s[52:53], s[36:37]
; %bb.146:
	v_add_co_u32_e64 v8, s[36:37], v1, v12
	v_addc_co_u32_e64 v2, s[36:37], 0, v2, s[36:37]
	v_add_co_u32_e64 v1, s[36:37], 0, v8
	v_addc_co_u32_e64 v2, s[36:37], v11, v2, s[36:37]
; %bb.147:
	s_or_b64 exec, exec, s[52:53]
	v_mov_b32_dpp v8, v8 row_shr:2 row_mask:0xf bank_mask:0xf
	v_add_co_u32_e64 v8, s[36:37], v1, v8
	v_addc_co_u32_e64 v12, s[36:37], 0, v2, s[36:37]
	v_mov_b32_dpp v11, v2 row_shr:2 row_mask:0xf bank_mask:0xf
	v_add_co_u32_e64 v8, s[36:37], 0, v8
	v_addc_co_u32_e64 v11, s[36:37], v12, v11, s[36:37]
	v_cmp_lt_u32_e64 s[36:37], 1, v4
	v_cndmask_b32_e64 v2, v2, v11, s[36:37]
	v_cndmask_b32_e64 v1, v1, v8, s[36:37]
	ds_write_b64 v3, v[1:2]
.LBB27_148:
	s_or_b64 exec, exec, s[38:39]
	v_cndmask_b32_e32 v1, v5, v7, vcc
	v_cmp_gt_u32_e32 vcc, 64, v0
	v_cmp_lt_u32_e64 s[36:37], 63, v0
	s_waitcnt lgkmcnt(0)
	s_barrier
                                        ; implicit-def: $vgpr11_vgpr12
	s_and_saveexec_b64 s[38:39], s[36:37]
	s_cbranch_execz .LBB27_150
; %bb.149:
	ds_read_b64 v[11:12], v6 offset:18424
	s_waitcnt lgkmcnt(0)
	v_add_u32_e32 v1, v1, v11
.LBB27_150:
	s_or_b64 exec, exec, s[38:39]
	v_subrev_co_u32_e64 v2, s[36:37], 1, v16
	v_and_b32_e32 v3, 64, v16
	v_cmp_lt_i32_e64 s[38:39], v2, v3
	v_cndmask_b32_e64 v2, v2, v16, s[38:39]
	v_lshlrev_b32_e32 v2, 2, v2
	ds_bpermute_b32 v63, v2, v1
	s_and_saveexec_b64 s[38:39], vcc
	s_cbranch_execz .LBB27_190
; %bb.151:
	v_mov_b32_e32 v4, 0
	ds_read_b64 v[1:2], v4 offset:18456
	s_and_saveexec_b64 s[52:53], s[36:37]
	s_cbranch_execz .LBB27_153
; %bb.152:
	s_add_i32 s54, s74, 64
	s_mov_b32 s55, 0
	s_lshl_b64 s[54:55], s[54:55], 4
	s_add_u32 s54, s72, s54
	s_addc_u32 s55, s73, s55
	v_mov_b32_e32 v5, s54
	v_mov_b32_e32 v3, 1
	;; [unrolled: 1-line block ×3, first 2 shown]
	s_waitcnt lgkmcnt(0)
	;;#ASMSTART
	global_store_dwordx4 v[5:6], v[1:4] off	
s_waitcnt vmcnt(0)
	;;#ASMEND
.LBB27_153:
	s_or_b64 exec, exec, s[52:53]
	v_xad_u32 v12, v16, -1, s74
	v_add_u32_e32 v3, 64, v12
	v_lshlrev_b64 v[5:6], 4, v[3:4]
	v_mov_b32_e32 v3, s73
	v_add_co_u32_e32 v13, vcc, s72, v5
	v_addc_co_u32_e32 v14, vcc, v3, v6, vcc
	;;#ASMSTART
	global_load_dwordx4 v[5:8], v[13:14] off glc	
s_waitcnt vmcnt(0)
	;;#ASMEND
	v_cmp_eq_u16_sdwa s[54:55], v7, v4 src0_sel:BYTE_0 src1_sel:DWORD
	s_and_saveexec_b64 s[52:53], s[54:55]
	s_cbranch_execz .LBB27_157
; %bb.154:
	s_mov_b64 s[54:55], 0
	v_mov_b32_e32 v3, 0
.LBB27_155:                             ; =>This Inner Loop Header: Depth=1
	;;#ASMSTART
	global_load_dwordx4 v[5:8], v[13:14] off glc	
s_waitcnt vmcnt(0)
	;;#ASMEND
	v_cmp_ne_u16_sdwa s[56:57], v7, v3 src0_sel:BYTE_0 src1_sel:DWORD
	s_or_b64 s[54:55], s[56:57], s[54:55]
	s_andn2_b64 exec, exec, s[54:55]
	s_cbranch_execnz .LBB27_155
; %bb.156:
	s_or_b64 exec, exec, s[54:55]
.LBB27_157:
	s_or_b64 exec, exec, s[52:53]
	v_and_b32_e32 v64, 63, v16
	v_mov_b32_e32 v3, 2
	v_lshlrev_b64 v[14:15], v16, -1
	v_cmp_ne_u32_e32 vcc, 63, v64
	v_cmp_eq_u16_sdwa s[52:53], v7, v3 src0_sel:BYTE_0 src1_sel:DWORD
	v_addc_co_u32_e32 v8, vcc, 0, v16, vcc
	v_and_b32_e32 v3, s53, v15
	v_lshlrev_b32_e32 v65, 2, v8
	v_or_b32_e32 v3, 0x80000000, v3
	ds_bpermute_b32 v13, v65, v5
	ds_bpermute_b32 v8, v65, v6
	v_and_b32_e32 v4, s52, v14
	v_ffbl_b32_e32 v3, v3
	v_add_u32_e32 v3, 32, v3
	v_ffbl_b32_e32 v4, v4
	v_min_u32_e32 v3, v4, v3
	v_cmp_lt_u32_e32 vcc, v64, v3
	v_mov_b32_e32 v4, v5
	s_and_saveexec_b64 s[52:53], vcc
	s_cbranch_execz .LBB27_159
; %bb.158:
	s_waitcnt lgkmcnt(1)
	v_add_co_u32_e32 v4, vcc, v5, v13
	v_addc_co_u32_e32 v6, vcc, 0, v6, vcc
	v_add_co_u32_e32 v5, vcc, 0, v4
	s_waitcnt lgkmcnt(0)
	v_addc_co_u32_e32 v6, vcc, v8, v6, vcc
.LBB27_159:
	s_or_b64 exec, exec, s[52:53]
	v_cmp_gt_u32_e32 vcc, 62, v64
	s_waitcnt lgkmcnt(0)
	v_cndmask_b32_e64 v8, 0, 2, vcc
	v_add_lshl_u32 v66, v8, v16, 2
	ds_bpermute_b32 v13, v66, v4
	ds_bpermute_b32 v8, v66, v6
	v_add_u32_e32 v67, 2, v64
	v_cmp_le_u32_e32 vcc, v67, v3
	s_and_saveexec_b64 s[52:53], vcc
	s_cbranch_execz .LBB27_161
; %bb.160:
	s_waitcnt lgkmcnt(1)
	v_add_co_u32_e32 v4, vcc, v5, v13
	v_addc_co_u32_e32 v6, vcc, 0, v6, vcc
	v_add_co_u32_e32 v5, vcc, 0, v4
	s_waitcnt lgkmcnt(0)
	v_addc_co_u32_e32 v6, vcc, v8, v6, vcc
.LBB27_161:
	s_or_b64 exec, exec, s[52:53]
	v_cmp_gt_u32_e32 vcc, 60, v64
	s_waitcnt lgkmcnt(0)
	v_cndmask_b32_e64 v8, 0, 4, vcc
	v_add_lshl_u32 v68, v8, v16, 2
	ds_bpermute_b32 v13, v68, v4
	ds_bpermute_b32 v8, v68, v6
	v_add_u32_e32 v69, 4, v64
	v_cmp_le_u32_e32 vcc, v69, v3
	;; [unrolled: 19-line block ×4, first 2 shown]
	s_and_saveexec_b64 s[52:53], vcc
	s_cbranch_execz .LBB27_167
; %bb.166:
	s_waitcnt lgkmcnt(1)
	v_add_co_u32_e32 v4, vcc, v5, v13
	v_addc_co_u32_e32 v6, vcc, 0, v6, vcc
	v_add_co_u32_e32 v5, vcc, 0, v4
	s_waitcnt lgkmcnt(0)
	v_addc_co_u32_e32 v6, vcc, v8, v6, vcc
.LBB27_167:
	s_or_b64 exec, exec, s[52:53]
	s_waitcnt lgkmcnt(0)
	v_mov_b32_e32 v8, 0x80
	v_lshl_or_b32 v74, v16, 2, v8
	ds_bpermute_b32 v4, v74, v4
	ds_bpermute_b32 v8, v74, v6
	v_add_u32_e32 v75, 32, v64
	v_mov_b32_e32 v13, 0
	v_mov_b32_e32 v76, 2
	s_waitcnt lgkmcnt(1)
	v_add_co_u32_e32 v4, vcc, v5, v4
	v_addc_co_u32_e32 v16, vcc, 0, v6, vcc
	v_add_co_u32_e32 v4, vcc, 0, v4
	s_waitcnt lgkmcnt(0)
	v_addc_co_u32_e32 v8, vcc, v16, v8, vcc
	v_cmp_gt_u32_e32 vcc, v75, v3
	v_cndmask_b32_e32 v6, v8, v6, vcc
	v_cndmask_b32_e32 v5, v4, v5, vcc
	s_branch .LBB27_170
.LBB27_168:                             ;   in Loop: Header=BB27_170 Depth=1
	s_or_b64 exec, exec, s[52:53]
	ds_bpermute_b32 v16, v74, v16
	s_waitcnt lgkmcnt(1)
	ds_bpermute_b32 v17, v74, v6
	v_subrev_u32_e32 v12, 64, v12
	s_mov_b64 s[52:53], 0
	s_waitcnt lgkmcnt(1)
	v_add_co_u32_e32 v16, vcc, v5, v16
	v_addc_co_u32_e32 v77, vcc, 0, v6, vcc
	v_add_co_u32_e32 v16, vcc, 0, v16
	s_waitcnt lgkmcnt(0)
	v_addc_co_u32_e32 v17, vcc, v77, v17, vcc
	v_cmp_gt_u32_e32 vcc, v75, v8
	v_cndmask_b32_e32 v5, v16, v5, vcc
	v_cndmask_b32_e32 v6, v17, v6, vcc
	v_add_co_u32_e32 v5, vcc, v5, v3
	v_addc_co_u32_e32 v6, vcc, v6, v4, vcc
.LBB27_169:                             ;   in Loop: Header=BB27_170 Depth=1
	s_and_b64 vcc, exec, s[52:53]
	s_cbranch_vccnz .LBB27_186
.LBB27_170:                             ; =>This Loop Header: Depth=1
                                        ;     Child Loop BB27_173 Depth 2
	v_mov_b32_e32 v3, v5
	v_cmp_ne_u16_sdwa s[52:53], v7, v76 src0_sel:BYTE_0 src1_sel:DWORD
	v_mov_b32_e32 v4, v6
	s_cmp_lg_u64 s[52:53], exec
	s_mov_b64 s[52:53], -1
                                        ; implicit-def: $vgpr5_vgpr6
                                        ; implicit-def: $vgpr7
	s_cbranch_scc1 .LBB27_169
; %bb.171:                              ;   in Loop: Header=BB27_170 Depth=1
	v_lshlrev_b64 v[5:6], 4, v[12:13]
	v_mov_b32_e32 v7, s73
	v_add_co_u32_e32 v16, vcc, s72, v5
	v_addc_co_u32_e32 v17, vcc, v7, v6, vcc
	;;#ASMSTART
	global_load_dwordx4 v[5:8], v[16:17] off glc	
s_waitcnt vmcnt(0)
	;;#ASMEND
	v_cmp_eq_u16_sdwa s[54:55], v7, v13 src0_sel:BYTE_0 src1_sel:DWORD
	s_and_saveexec_b64 s[52:53], s[54:55]
	s_cbranch_execz .LBB27_175
; %bb.172:                              ;   in Loop: Header=BB27_170 Depth=1
	s_mov_b64 s[54:55], 0
.LBB27_173:                             ;   Parent Loop BB27_170 Depth=1
                                        ; =>  This Inner Loop Header: Depth=2
	;;#ASMSTART
	global_load_dwordx4 v[5:8], v[16:17] off glc	
s_waitcnt vmcnt(0)
	;;#ASMEND
	v_cmp_ne_u16_sdwa s[56:57], v7, v13 src0_sel:BYTE_0 src1_sel:DWORD
	s_or_b64 s[54:55], s[56:57], s[54:55]
	s_andn2_b64 exec, exec, s[54:55]
	s_cbranch_execnz .LBB27_173
; %bb.174:                              ;   in Loop: Header=BB27_170 Depth=1
	s_or_b64 exec, exec, s[54:55]
.LBB27_175:                             ;   in Loop: Header=BB27_170 Depth=1
	s_or_b64 exec, exec, s[52:53]
	v_cmp_eq_u16_sdwa s[52:53], v7, v76 src0_sel:BYTE_0 src1_sel:DWORD
	v_and_b32_e32 v8, s53, v15
	v_or_b32_e32 v8, 0x80000000, v8
	ds_bpermute_b32 v77, v65, v5
	ds_bpermute_b32 v17, v65, v6
	v_and_b32_e32 v16, s52, v14
	v_ffbl_b32_e32 v8, v8
	v_add_u32_e32 v8, 32, v8
	v_ffbl_b32_e32 v16, v16
	v_min_u32_e32 v8, v16, v8
	v_cmp_lt_u32_e32 vcc, v64, v8
	v_mov_b32_e32 v16, v5
	s_and_saveexec_b64 s[52:53], vcc
	s_cbranch_execz .LBB27_177
; %bb.176:                              ;   in Loop: Header=BB27_170 Depth=1
	s_waitcnt lgkmcnt(1)
	v_add_co_u32_e32 v16, vcc, v5, v77
	v_addc_co_u32_e32 v6, vcc, 0, v6, vcc
	v_add_co_u32_e32 v5, vcc, 0, v16
	s_waitcnt lgkmcnt(0)
	v_addc_co_u32_e32 v6, vcc, v17, v6, vcc
.LBB27_177:                             ;   in Loop: Header=BB27_170 Depth=1
	s_or_b64 exec, exec, s[52:53]
	s_waitcnt lgkmcnt(1)
	ds_bpermute_b32 v77, v66, v16
	s_waitcnt lgkmcnt(1)
	ds_bpermute_b32 v17, v66, v6
	v_cmp_le_u32_e32 vcc, v67, v8
	s_and_saveexec_b64 s[52:53], vcc
	s_cbranch_execz .LBB27_179
; %bb.178:                              ;   in Loop: Header=BB27_170 Depth=1
	s_waitcnt lgkmcnt(1)
	v_add_co_u32_e32 v16, vcc, v5, v77
	v_addc_co_u32_e32 v6, vcc, 0, v6, vcc
	v_add_co_u32_e32 v5, vcc, 0, v16
	s_waitcnt lgkmcnt(0)
	v_addc_co_u32_e32 v6, vcc, v17, v6, vcc
.LBB27_179:                             ;   in Loop: Header=BB27_170 Depth=1
	s_or_b64 exec, exec, s[52:53]
	s_waitcnt lgkmcnt(1)
	ds_bpermute_b32 v77, v68, v16
	s_waitcnt lgkmcnt(1)
	ds_bpermute_b32 v17, v68, v6
	v_cmp_le_u32_e32 vcc, v69, v8
	;; [unrolled: 16-line block ×4, first 2 shown]
	s_and_saveexec_b64 s[52:53], vcc
	s_cbranch_execz .LBB27_168
; %bb.184:                              ;   in Loop: Header=BB27_170 Depth=1
	s_waitcnt lgkmcnt(1)
	v_add_co_u32_e32 v16, vcc, v5, v77
	v_addc_co_u32_e32 v6, vcc, 0, v6, vcc
	v_add_co_u32_e32 v5, vcc, 0, v16
	s_waitcnt lgkmcnt(0)
	v_addc_co_u32_e32 v6, vcc, v17, v6, vcc
	s_branch .LBB27_168
.LBB27_185:
                                        ; implicit-def: $vgpr1_vgpr2
                                        ; implicit-def: $vgpr5_vgpr6
	s_movk_i32 s33, 0x4820
	s_cbranch_execnz .LBB27_191
	s_branch .LBB27_210
.LBB27_186:
	s_and_saveexec_b64 s[52:53], s[36:37]
	s_cbranch_execz .LBB27_188
; %bb.187:
	s_add_i32 s54, s74, 64
	s_mov_b32 s55, 0
	s_lshl_b64 s[54:55], s[54:55], 4
	s_add_u32 s54, s72, s54
	v_add_co_u32_e32 v5, vcc, v3, v1
	s_addc_u32 s55, s73, s55
	v_mov_b32_e32 v12, s54
	v_addc_co_u32_e32 v6, vcc, v4, v2, vcc
	v_mov_b32_e32 v7, 2
	v_mov_b32_e32 v8, 0
	;; [unrolled: 1-line block ×3, first 2 shown]
	;;#ASMSTART
	global_store_dwordx4 v[12:13], v[5:8] off	
s_waitcnt vmcnt(0)
	;;#ASMEND
	ds_write_b128 v8, v[1:4] offset:18464
.LBB27_188:
	s_or_b64 exec, exec, s[52:53]
	s_and_b64 exec, exec, s[0:1]
; %bb.189:
	v_mov_b32_e32 v1, 0
	ds_write_b64 v1, v[3:4] offset:18456
.LBB27_190:
	s_or_b64 exec, exec, s[38:39]
	v_mov_b32_e32 v1, 0
	s_waitcnt lgkmcnt(0)
	s_barrier
	ds_read_b64 v[3:4], v1 offset:18456
	s_waitcnt lgkmcnt(0)
	s_barrier
	ds_read_b64 v[1:2], v1 offset:18472
	v_cndmask_b32_e64 v5, v63, v11, s[36:37]
	v_cndmask_b32_e64 v4, v5, 0, s[0:1]
	v_add_co_u32_e32 v5, vcc, v3, v4
	s_movk_i32 s33, 0x4820
	s_branch .LBB27_210
.LBB27_191:
	s_waitcnt lgkmcnt(0)
	v_mbcnt_lo_u32_b32 v1, -1, 0
	v_mbcnt_hi_u32_b32 v5, -1, v1
	v_mov_b32_e32 v2, 0
	v_and_b32_e32 v6, 15, v5
	v_mov_b32_e32 v3, v9
	v_mov_b32_dpp v1, v9 row_shr:1 row_mask:0xf bank_mask:0xf
	v_mov_b32_dpp v7, v2 row_shr:1 row_mask:0xf bank_mask:0xf
	v_cmp_ne_u32_e32 vcc, 0, v6
	v_mov_b32_e32 v4, v10
	s_and_saveexec_b64 s[36:37], vcc
; %bb.192:
	v_add_co_u32_e32 v9, vcc, v1, v9
	v_addc_co_u32_e64 v2, s[38:39], 0, 0, vcc
	v_add_co_u32_e32 v1, vcc, 0, v9
	v_addc_co_u32_e32 v2, vcc, v7, v2, vcc
	v_mov_b32_e32 v4, v2
	v_mov_b32_e32 v3, v1
; %bb.193:
	s_or_b64 exec, exec, s[36:37]
	v_mov_b32_dpp v1, v9 row_shr:2 row_mask:0xf bank_mask:0xf
	v_mov_b32_dpp v7, v2 row_shr:2 row_mask:0xf bank_mask:0xf
	v_cmp_lt_u32_e32 vcc, 1, v6
	s_and_saveexec_b64 s[36:37], vcc
; %bb.194:
	v_add_co_u32_e32 v9, vcc, v3, v1
	v_addc_co_u32_e32 v2, vcc, 0, v4, vcc
	v_add_co_u32_e32 v1, vcc, 0, v9
	v_addc_co_u32_e32 v2, vcc, v7, v2, vcc
	v_mov_b32_e32 v4, v2
	v_mov_b32_e32 v3, v1
; %bb.195:
	s_or_b64 exec, exec, s[36:37]
	v_mov_b32_dpp v1, v9 row_shr:4 row_mask:0xf bank_mask:0xf
	v_mov_b32_dpp v7, v2 row_shr:4 row_mask:0xf bank_mask:0xf
	v_cmp_lt_u32_e32 vcc, 3, v6
	s_and_saveexec_b64 s[36:37], vcc
; %bb.196:
	v_add_co_u32_e32 v9, vcc, v3, v1
	v_addc_co_u32_e32 v2, vcc, 0, v4, vcc
	;; [unrolled: 13-line block ×3, first 2 shown]
	v_add_co_u32_e32 v1, vcc, 0, v9
	v_addc_co_u32_e32 v2, vcc, v7, v2, vcc
	v_mov_b32_e32 v4, v2
	v_mov_b32_e32 v3, v1
; %bb.199:
	s_or_b64 exec, exec, s[36:37]
	v_and_b32_e32 v7, 16, v5
	v_mov_b32_dpp v1, v9 row_bcast:15 row_mask:0xf bank_mask:0xf
	v_mov_b32_dpp v6, v2 row_bcast:15 row_mask:0xf bank_mask:0xf
	v_cmp_ne_u32_e32 vcc, 0, v7
	s_and_saveexec_b64 s[36:37], vcc
; %bb.200:
	v_add_co_u32_e32 v9, vcc, v3, v1
	v_addc_co_u32_e32 v2, vcc, 0, v4, vcc
	v_add_co_u32_e32 v1, vcc, 0, v9
	v_addc_co_u32_e32 v2, vcc, v6, v2, vcc
	v_mov_b32_e32 v4, v2
	v_mov_b32_e32 v3, v1
; %bb.201:
	s_or_b64 exec, exec, s[36:37]
	v_mov_b32_dpp v6, v9 row_bcast:31 row_mask:0xf bank_mask:0xf
	v_add_co_u32_e64 v6, s[36:37], v3, v6
	v_mov_b32_dpp v1, v2 row_bcast:31 row_mask:0xf bank_mask:0xf
	v_addc_co_u32_e64 v2, s[36:37], 0, v4, s[36:37]
	v_lshrrev_b32_e32 v7, 6, v0
	v_or_b32_e32 v8, 63, v0
	v_cmp_lt_u32_e32 vcc, 31, v5
	v_cmp_eq_u32_e64 s[36:37], v0, v8
	v_lshlrev_b32_e32 v7, 3, v7
	s_and_saveexec_b64 s[38:39], s[36:37]
; %bb.202:
	v_add_co_u32_e64 v8, s[36:37], 0, v6
	v_addc_co_u32_e64 v1, s[36:37], v1, v2, s[36:37]
	v_cndmask_b32_e32 v2, v4, v1, vcc
	v_cndmask_b32_e32 v1, v3, v8, vcc
	ds_write_b64 v7, v[1:2] offset:18432
; %bb.203:
	s_or_b64 exec, exec, s[38:39]
	v_cmp_gt_u32_e64 s[36:37], 4, v0
	s_waitcnt lgkmcnt(0)
	s_barrier
	s_and_saveexec_b64 s[38:39], s[36:37]
	s_cbranch_execz .LBB27_207
; %bb.204:
	v_lshlrev_b32_e32 v3, 3, v0
	ds_read_b64 v[1:2], v3 offset:18432
	v_and_b32_e32 v4, 3, v5
	v_or_b32_e32 v3, 0x4800, v3
	v_cmp_ne_u32_e64 s[36:37], 0, v4
	s_waitcnt lgkmcnt(0)
	v_mov_b32_dpp v11, v1 row_shr:1 row_mask:0xf bank_mask:0xf
	v_mov_b32_dpp v10, v2 row_shr:1 row_mask:0xf bank_mask:0xf
	v_mov_b32_e32 v8, v1
	s_and_saveexec_b64 s[52:53], s[36:37]
; %bb.205:
	v_add_co_u32_e64 v8, s[36:37], v1, v11
	v_addc_co_u32_e64 v2, s[36:37], 0, v2, s[36:37]
	v_add_co_u32_e64 v1, s[36:37], 0, v8
	v_addc_co_u32_e64 v2, s[36:37], v10, v2, s[36:37]
; %bb.206:
	s_or_b64 exec, exec, s[52:53]
	v_mov_b32_dpp v8, v8 row_shr:2 row_mask:0xf bank_mask:0xf
	v_add_co_u32_e64 v8, s[36:37], v1, v8
	v_addc_co_u32_e64 v11, s[36:37], 0, v2, s[36:37]
	v_mov_b32_dpp v10, v2 row_shr:2 row_mask:0xf bank_mask:0xf
	v_add_co_u32_e64 v8, s[36:37], 0, v8
	v_addc_co_u32_e64 v10, s[36:37], v11, v10, s[36:37]
	v_cmp_lt_u32_e64 s[36:37], 1, v4
	v_cndmask_b32_e64 v2, v2, v10, s[36:37]
	v_cndmask_b32_e64 v1, v1, v8, s[36:37]
	ds_write_b64 v3, v[1:2]
.LBB27_207:
	s_or_b64 exec, exec, s[38:39]
	v_mov_b32_e32 v1, 0
	v_mov_b32_e32 v2, 0
	;; [unrolled: 1-line block ×3, first 2 shown]
	v_cmp_lt_u32_e64 s[36:37], 63, v0
	s_waitcnt lgkmcnt(0)
	s_barrier
	v_mov_b32_e32 v4, 0
	s_and_saveexec_b64 s[38:39], s[36:37]
; %bb.208:
	ds_read_b64 v[3:4], v7 offset:18424
; %bb.209:
	s_or_b64 exec, exec, s[38:39]
	s_waitcnt lgkmcnt(0)
	v_cndmask_b32_e32 v4, v9, v6, vcc
	v_subrev_co_u32_e32 v6, vcc, 1, v5
	v_and_b32_e32 v7, 64, v5
	v_cmp_lt_i32_e64 s[36:37], v6, v7
	v_cndmask_b32_e64 v5, v6, v5, s[36:37]
	v_add_u32_e32 v4, v4, v3
	v_lshlrev_b32_e32 v5, 2, v5
	ds_bpermute_b32 v4, v5, v4
	s_movk_i32 s33, 0x4818
	s_waitcnt lgkmcnt(0)
	v_cndmask_b32_e32 v5, v4, v3, vcc
.LBB27_210:
	v_mov_b32_e32 v3, s33
	ds_read_b64 v[3:4], v3
	s_waitcnt lgkmcnt(1)
	v_sub_u32_e32 v5, v5, v1
	s_waitcnt lgkmcnt(0)
	s_barrier
	s_and_saveexec_b64 s[36:37], s[50:51]
	s_cbranch_execnz .LBB27_256
; %bb.211:
	s_or_b64 exec, exec, s[36:37]
	s_and_saveexec_b64 s[2:3], s[48:49]
	s_cbranch_execnz .LBB27_257
.LBB27_212:
	s_or_b64 exec, exec, s[2:3]
	s_and_saveexec_b64 s[2:3], s[40:41]
	s_cbranch_execnz .LBB27_258
.LBB27_213:
	s_or_b64 exec, exec, s[2:3]
	s_and_saveexec_b64 s[2:3], s[42:43]
	s_cbranch_execnz .LBB27_259
.LBB27_214:
	s_or_b64 exec, exec, s[2:3]
	s_and_saveexec_b64 s[2:3], s[44:45]
	s_cbranch_execnz .LBB27_260
.LBB27_215:
	s_or_b64 exec, exec, s[2:3]
	s_and_saveexec_b64 s[2:3], s[46:47]
.LBB27_216:
	v_cndmask_b32_e64 v6, v36, v35, s[12:13]
	v_lshlrev_b32_e32 v7, 2, v5
	v_add_u32_e32 v5, 1, v5
	ds_write_b32 v7, v6 offset:19456
.LBB27_217:
	s_or_b64 exec, exec, s[2:3]
	v_and_b32_e32 v6, 64, v62
	v_cmp_ne_u32_e32 vcc, 0, v6
	s_and_saveexec_b64 s[2:3], vcc
; %bb.218:
	v_cndmask_b32_e64 v6, v38, v37, s[14:15]
	v_lshlrev_b32_e32 v7, 2, v5
	v_add_u32_e32 v5, 1, v5
	ds_write_b32 v7, v6 offset:19456
; %bb.219:
	s_or_b64 exec, exec, s[2:3]
	v_and_b32_e32 v6, 0x80, v61
	v_cmp_ne_u32_e32 vcc, 0, v6
	s_and_saveexec_b64 s[2:3], vcc
; %bb.220:
	v_cndmask_b32_e64 v6, v40, v39, s[16:17]
	v_lshlrev_b32_e32 v7, 2, v5
	v_add_u32_e32 v5, 1, v5
	ds_write_b32 v7, v6 offset:19456
; %bb.221:
	;; [unrolled: 10-line block ×9, first 2 shown]
	s_or_b64 exec, exec, s[2:3]
	v_and_b32_e32 v6, 0x8000, v57
	v_cmp_ne_u32_e32 vcc, 0, v6
	s_and_saveexec_b64 s[2:3], vcc
; %bb.236:
	v_cndmask_b32_e64 v6, v56, v55, s[34:35]
	v_lshlrev_b32_e32 v5, 2, v5
	ds_write_b32 v5, v6 offset:19456
; %bb.237:
	s_or_b64 exec, exec, s[2:3]
	v_cmp_lt_i32_e32 vcc, v0, v3
	s_waitcnt lgkmcnt(0)
	s_barrier
	s_and_saveexec_b64 s[2:3], vcc
	s_cbranch_execz .LBB27_240
; %bb.238:
	v_lshlrev_b64 v[5:6], 2, v[1:2]
	v_mov_b32_e32 v8, s69
	v_add_co_u32_e32 v5, vcc, s68, v5
	v_addc_co_u32_e32 v6, vcc, v8, v6, vcc
	v_add_co_u32_e32 v5, vcc, v5, v24
	v_or_b32_e32 v7, 0x4c00, v24
	v_addc_co_u32_e32 v6, vcc, 0, v6, vcc
	s_mov_b64 s[4:5], 0
	v_mov_b32_e32 v8, v0
.LBB27_239:                             ; =>This Inner Loop Header: Depth=1
	ds_read_b32 v9, v7
	v_add_u32_e32 v8, 0x100, v8
	v_cmp_ge_i32_e32 vcc, v8, v3
	s_or_b64 s[4:5], vcc, s[4:5]
	v_add_u32_e32 v7, 0x400, v7
	s_waitcnt lgkmcnt(0)
	global_store_dword v[5:6], v9, off
	v_add_co_u32_e32 v5, vcc, 0x400, v5
	v_addc_co_u32_e32 v6, vcc, 0, v6, vcc
	s_andn2_b64 exec, exec, s[4:5]
	s_cbranch_execnz .LBB27_239
.LBB27_240:
	s_or_b64 exec, exec, s[2:3]
	s_and_saveexec_b64 s[2:3], s[0:1]
	s_cbranch_execz .LBB27_242
; %bb.241:
	v_add_co_u32_e32 v1, vcc, v3, v1
	v_mov_b32_e32 v5, 0
	v_addc_co_u32_e32 v2, vcc, v4, v2, vcc
	global_store_dwordx2 v5, v[1:2], s[70:71]
.LBB27_242:
	s_or_b64 exec, exec, s[2:3]
	s_mov_b64 s[0:1], 0
.LBB27_243:
	s_and_b64 vcc, exec, s[0:1]
	s_cbranch_vccz .LBB27_456
; %bb.244:
	v_mov_b32_e32 v1, 0
	v_lshlrev_b32_e32 v4, 2, v0
	v_sub_u32_e32 v6, v0, v18
	v_mov_b32_e32 v7, v1
	v_add_co_u32_e32 v5, vcc, v22, v4
	v_lshlrev_b64 v[6:7], 2, v[6:7]
	v_addc_co_u32_e32 v3, vcc, 0, v23, vcc
	v_add_co_u32_e32 v2, vcc, v20, v6
	v_addc_co_u32_e32 v6, vcc, v21, v7, vcc
	v_cmp_lt_i32_e32 vcc, v0, v18
	v_cndmask_b32_e32 v7, v6, v3, vcc
	v_cndmask_b32_e32 v6, v2, v5, vcc
	v_or_b32_e32 v8, 0x100, v0
	global_load_dword v2, v[6:7], off
	s_movk_i32 s0, 0x400
	v_sub_u32_e32 v6, v8, v18
	v_mov_b32_e32 v7, v1
	v_add_co_u32_e32 v9, vcc, s0, v5
	v_lshlrev_b64 v[6:7], 2, v[6:7]
	v_addc_co_u32_e32 v10, vcc, 0, v3, vcc
	v_add_co_u32_e32 v6, vcc, v20, v6
	v_addc_co_u32_e32 v7, vcc, v21, v7, vcc
	v_cmp_lt_i32_e32 vcc, v8, v18
	v_cndmask_b32_e32 v7, v7, v10, vcc
	v_cndmask_b32_e32 v6, v6, v9, vcc
	v_or_b32_e32 v9, 0x200, v0
	global_load_dword v6, v[6:7], off
	s_movk_i32 s0, 0x800
	;; [unrolled: 13-line block ×3, first 2 shown]
	v_sub_u32_e32 v8, v10, v18
	v_mov_b32_e32 v9, v1
	v_add_co_u32_e32 v11, vcc, s0, v5
	v_lshlrev_b64 v[8:9], 2, v[8:9]
	v_addc_co_u32_e32 v12, vcc, 0, v3, vcc
	v_add_co_u32_e32 v8, vcc, v20, v8
	v_addc_co_u32_e32 v9, vcc, v21, v9, vcc
	v_cmp_lt_i32_e32 vcc, v10, v18
	v_cndmask_b32_e32 v9, v9, v12, vcc
	v_cndmask_b32_e32 v8, v8, v11, vcc
	v_or_b32_e32 v11, 0x400, v0
	global_load_dword v8, v[8:9], off
	v_lshlrev_b32_e32 v9, 2, v11
	v_add_co_u32_e32 v12, vcc, v22, v9
	v_sub_u32_e32 v9, v11, v18
	v_mov_b32_e32 v10, v1
	v_lshlrev_b64 v[9:10], 2, v[9:10]
	v_addc_co_u32_e32 v13, vcc, 0, v23, vcc
	v_add_co_u32_e32 v9, vcc, v20, v9
	v_addc_co_u32_e32 v10, vcc, v21, v10, vcc
	v_cmp_lt_i32_e32 vcc, v11, v18
	v_cndmask_b32_e32 v10, v10, v13, vcc
	v_cndmask_b32_e32 v9, v9, v12, vcc
	v_or_b32_e32 v12, 0x500, v0
	global_load_dword v9, v[9:10], off
	s_movk_i32 s0, 0x1400
	v_sub_u32_e32 v10, v12, v18
	v_mov_b32_e32 v11, v1
	v_add_co_u32_e32 v13, vcc, s0, v5
	v_lshlrev_b64 v[10:11], 2, v[10:11]
	v_addc_co_u32_e32 v14, vcc, 0, v3, vcc
	v_add_co_u32_e32 v10, vcc, v20, v10
	v_addc_co_u32_e32 v11, vcc, v21, v11, vcc
	v_cmp_lt_i32_e32 vcc, v12, v18
	v_cndmask_b32_e32 v11, v11, v14, vcc
	v_cndmask_b32_e32 v10, v10, v13, vcc
	v_or_b32_e32 v13, 0x600, v0
	global_load_dword v10, v[10:11], off
	s_movk_i32 s0, 0x1800
	v_sub_u32_e32 v11, v13, v18
	v_mov_b32_e32 v12, v1
	v_add_co_u32_e32 v14, vcc, s0, v5
	;; [unrolled: 13-line block ×3, first 2 shown]
	v_lshlrev_b64 v[12:13], 2, v[12:13]
	v_addc_co_u32_e32 v16, vcc, 0, v3, vcc
	v_add_co_u32_e32 v12, vcc, v20, v12
	v_addc_co_u32_e32 v13, vcc, v21, v13, vcc
	v_cmp_lt_i32_e32 vcc, v14, v18
	v_cndmask_b32_e32 v13, v13, v16, vcc
	v_cndmask_b32_e32 v12, v12, v15, vcc
	v_or_b32_e32 v15, 0x800, v0
	global_load_dword v12, v[12:13], off
	v_lshlrev_b32_e32 v13, 2, v15
	v_add_co_u32_e32 v16, vcc, v22, v13
	v_sub_u32_e32 v13, v15, v18
	v_mov_b32_e32 v14, v1
	v_lshlrev_b64 v[13:14], 2, v[13:14]
	v_addc_co_u32_e32 v17, vcc, 0, v23, vcc
	v_add_co_u32_e32 v13, vcc, v20, v13
	v_addc_co_u32_e32 v14, vcc, v21, v14, vcc
	v_cmp_lt_i32_e32 vcc, v15, v18
	v_cndmask_b32_e32 v14, v14, v17, vcc
	v_cndmask_b32_e32 v13, v13, v16, vcc
	v_or_b32_e32 v16, 0x900, v0
	global_load_dword v13, v[13:14], off
	s_movk_i32 s0, 0x2400
	v_sub_u32_e32 v14, v16, v18
	v_mov_b32_e32 v15, v1
	v_add_co_u32_e32 v17, vcc, s0, v5
	v_lshlrev_b64 v[14:15], 2, v[14:15]
	v_addc_co_u32_e32 v24, vcc, 0, v3, vcc
	v_add_co_u32_e32 v14, vcc, v20, v14
	v_addc_co_u32_e32 v15, vcc, v21, v15, vcc
	v_cmp_lt_i32_e32 vcc, v16, v18
	v_cndmask_b32_e32 v15, v15, v24, vcc
	v_cndmask_b32_e32 v14, v14, v17, vcc
	v_or_b32_e32 v17, 0xa00, v0
	global_load_dword v14, v[14:15], off
	s_movk_i32 s0, 0x2800
	v_sub_u32_e32 v15, v17, v18
	v_mov_b32_e32 v16, v1
	v_add_co_u32_e32 v24, vcc, s0, v5
	v_lshlrev_b64 v[15:16], 2, v[15:16]
	v_addc_co_u32_e32 v25, vcc, 0, v3, vcc
	v_add_co_u32_e32 v15, vcc, v20, v15
	v_addc_co_u32_e32 v16, vcc, v21, v16, vcc
	v_cmp_lt_i32_e32 vcc, v17, v18
	v_cndmask_b32_e32 v16, v16, v25, vcc
	v_cndmask_b32_e32 v15, v15, v24, vcc
	v_or_b32_e32 v24, 0xb00, v0
	global_load_dword v15, v[15:16], off
	s_movk_i32 s0, 0x2c00
	v_sub_u32_e32 v16, v24, v18
	v_mov_b32_e32 v17, v1
	v_add_co_u32_e32 v25, vcc, s0, v5
	v_lshlrev_b64 v[16:17], 2, v[16:17]
	v_addc_co_u32_e32 v26, vcc, 0, v3, vcc
	v_add_co_u32_e32 v16, vcc, v20, v16
	v_addc_co_u32_e32 v17, vcc, v21, v17, vcc
	v_cmp_lt_i32_e32 vcc, v24, v18
	v_cndmask_b32_e32 v17, v17, v26, vcc
	v_cndmask_b32_e32 v16, v16, v25, vcc
	global_load_dword v16, v[16:17], off
	v_or_b32_e32 v17, 0xc00, v0
	v_lshlrev_b32_e32 v24, 2, v17
	v_add_co_u32_e32 v24, vcc, v22, v24
	v_addc_co_u32_e32 v25, vcc, 0, v23, vcc
	v_sub_u32_e32 v22, v17, v18
	v_mov_b32_e32 v23, v1
	v_lshlrev_b64 v[22:23], 2, v[22:23]
	s_movk_i32 s0, 0x3400
	v_add_co_u32_e32 v22, vcc, v20, v22
	v_addc_co_u32_e32 v23, vcc, v21, v23, vcc
	v_cmp_lt_i32_e32 vcc, v17, v18
	v_cndmask_b32_e32 v23, v23, v25, vcc
	v_cndmask_b32_e32 v22, v22, v24, vcc
	v_or_b32_e32 v24, 0xd00, v0
	global_load_dword v17, v[22:23], off
	v_sub_u32_e32 v22, v24, v18
	v_mov_b32_e32 v23, v1
	v_add_co_u32_e32 v25, vcc, s0, v5
	v_lshlrev_b64 v[22:23], 2, v[22:23]
	v_addc_co_u32_e32 v26, vcc, 0, v3, vcc
	v_add_co_u32_e32 v22, vcc, v20, v22
	v_addc_co_u32_e32 v23, vcc, v21, v23, vcc
	v_cmp_lt_i32_e32 vcc, v24, v18
	v_cndmask_b32_e32 v23, v23, v26, vcc
	v_cndmask_b32_e32 v22, v22, v25, vcc
	v_or_b32_e32 v25, 0xe00, v0
	global_load_dword v22, v[22:23], off
	s_movk_i32 s0, 0x3800
	v_sub_u32_e32 v23, v25, v18
	v_mov_b32_e32 v24, v1
	v_add_co_u32_e32 v26, vcc, s0, v5
	v_lshlrev_b64 v[23:24], 2, v[23:24]
	v_addc_co_u32_e32 v27, vcc, 0, v3, vcc
	v_add_co_u32_e32 v23, vcc, v20, v23
	v_addc_co_u32_e32 v24, vcc, v21, v24, vcc
	v_cmp_lt_i32_e32 vcc, v25, v18
	v_cndmask_b32_e32 v24, v24, v27, vcc
	v_cndmask_b32_e32 v23, v23, v26, vcc
	global_load_dword v24, v[23:24], off
	v_or_b32_e32 v25, 0xf00, v0
	v_add_u32_e32 v23, v19, v18
	v_cmp_lt_i32_e32 vcc, v25, v23
	v_mov_b32_e32 v26, 0
	s_and_saveexec_b64 s[0:1], vcc
	s_cbranch_execz .LBB27_246
; %bb.245:
	v_sub_u32_e32 v26, v25, v18
	v_mov_b32_e32 v27, 0
	v_add_co_u32_e32 v5, vcc, 0x3c00, v5
	v_lshlrev_b64 v[26:27], 2, v[26:27]
	v_addc_co_u32_e32 v3, vcc, 0, v3, vcc
	v_add_co_u32_e32 v20, vcc, v20, v26
	v_addc_co_u32_e32 v21, vcc, v21, v27, vcc
	v_cmp_lt_i32_e32 vcc, v25, v18
	v_cndmask_b32_e32 v21, v21, v3, vcc
	v_cndmask_b32_e32 v20, v20, v5, vcc
	global_load_dword v26, v[20:21], off
.LBB27_246:
	s_or_b64 exec, exec, s[0:1]
	s_waitcnt vmcnt(13)
	ds_write2st64_b32 v4, v2, v6 offset0:4 offset1:8
	s_waitcnt vmcnt(11)
	ds_write2st64_b32 v4, v7, v8 offset0:12 offset1:16
	;; [unrolled: 2-line block ×8, first 2 shown]
	v_lshlrev_b32_e32 v2, 4, v0
	v_min_i32_e32 v3, v23, v2
	v_sub_u32_e32 v2, v3, v19
	v_max_i32_e32 v2, 0, v2
	v_min_i32_e32 v6, v18, v3
	v_lshlrev_b32_e32 v5, 2, v18
	v_cmp_lt_i32_e32 vcc, v2, v6
	s_waitcnt lgkmcnt(0)
	s_barrier
	s_and_saveexec_b64 s[0:1], vcc
	s_cbranch_execz .LBB27_250
; %bb.247:
	v_lshl_add_u32 v7, v3, 2, v5
	v_add_u32_e32 v7, 0x400, v7
	s_mov_b64 s[2:3], 0
.LBB27_248:                             ; =>This Inner Loop Header: Depth=1
	v_add_u32_e32 v8, v6, v2
	v_lshrrev_b32_e32 v8, 1, v8
	v_not_b32_e32 v10, v8
	v_lshlrev_b32_e32 v9, 2, v8
	v_lshl_add_u32 v10, v10, 2, v7
	ds_read_b32 v9, v9 offset:1024
	ds_read_b32 v10, v10
	v_add_u32_e32 v11, 1, v8
	s_waitcnt lgkmcnt(0)
	v_cmp_lt_i32_e32 vcc, v10, v9
	v_cndmask_b32_e32 v6, v6, v8, vcc
	v_cndmask_b32_e32 v2, v11, v2, vcc
	v_cmp_ge_i32_e32 vcc, v2, v6
	s_or_b64 s[2:3], vcc, s[2:3]
	s_andn2_b64 exec, exec, s[2:3]
	s_cbranch_execnz .LBB27_248
; %bb.249:
	s_or_b64 exec, exec, s[2:3]
.LBB27_250:
	s_or_b64 exec, exec, s[0:1]
	v_sub_u32_e32 v9, v3, v2
	v_cmp_lt_i32_e32 vcc, v9, v19
	v_mov_b32_e32 v7, 0
	s_and_saveexec_b64 s[2:3], vcc
	s_cbranch_execz .LBB27_285
; %bb.251:
	v_lshl_add_u32 v7, v9, 2, v5
	ds_read_b32 v8, v7 offset:1024
	v_mov_b32_e32 v6, 0
	v_cmp_lt_i32_e32 vcc, 0, v2
	v_mov_b32_e32 v10, 0
	s_and_saveexec_b64 s[0:1], vcc
	s_cbranch_execnz .LBB27_261
; %bb.252:
	s_or_b64 exec, exec, s[0:1]
	v_cmp_lt_i32_e32 vcc, v6, v10
	s_and_saveexec_b64 s[0:1], vcc
	s_cbranch_execnz .LBB27_262
.LBB27_253:
	s_or_b64 exec, exec, s[0:1]
	v_cmp_lt_i32_e32 vcc, v6, v10
	s_and_saveexec_b64 s[0:1], vcc
	s_cbranch_execnz .LBB27_263
.LBB27_254:
	s_or_b64 exec, exec, s[0:1]
	v_cmp_lt_i32_e32 vcc, v6, v10
	s_and_saveexec_b64 s[0:1], vcc
	s_cbranch_execnz .LBB27_264
.LBB27_255:
	s_or_b64 exec, exec, s[0:1]
	v_cmp_lt_i32_e32 vcc, v6, v10
	s_and_saveexec_b64 s[0:1], vcc
	s_cbranch_execnz .LBB27_265
	s_branch .LBB27_268
.LBB27_256:
	v_cndmask_b32_e64 v6, v26, v25, s[2:3]
	v_lshlrev_b32_e32 v7, 2, v5
	v_add_u32_e32 v5, 1, v5
	ds_write_b32 v7, v6 offset:19456
	s_or_b64 exec, exec, s[36:37]
	s_and_saveexec_b64 s[2:3], s[48:49]
	s_cbranch_execz .LBB27_212
.LBB27_257:
	v_cndmask_b32_e64 v6, v28, v27, s[4:5]
	v_lshlrev_b32_e32 v7, 2, v5
	v_add_u32_e32 v5, 1, v5
	ds_write_b32 v7, v6 offset:19456
	s_or_b64 exec, exec, s[2:3]
	s_and_saveexec_b64 s[2:3], s[40:41]
	s_cbranch_execz .LBB27_213
.LBB27_258:
	v_cndmask_b32_e64 v6, v30, v29, s[6:7]
	v_lshlrev_b32_e32 v7, 2, v5
	v_add_u32_e32 v5, 1, v5
	ds_write_b32 v7, v6 offset:19456
	s_or_b64 exec, exec, s[2:3]
	s_and_saveexec_b64 s[2:3], s[42:43]
	s_cbranch_execz .LBB27_214
.LBB27_259:
	v_cndmask_b32_e64 v6, v32, v31, s[8:9]
	v_lshlrev_b32_e32 v7, 2, v5
	v_add_u32_e32 v5, 1, v5
	ds_write_b32 v7, v6 offset:19456
	s_or_b64 exec, exec, s[2:3]
	s_and_saveexec_b64 s[2:3], s[44:45]
	s_cbranch_execz .LBB27_215
.LBB27_260:
	v_cndmask_b32_e64 v6, v34, v33, s[10:11]
	v_lshlrev_b32_e32 v7, 2, v5
	v_add_u32_e32 v5, 1, v5
	ds_write_b32 v7, v6 offset:19456
	s_or_b64 exec, exec, s[2:3]
	s_and_saveexec_b64 s[2:3], s[46:47]
	s_cbranch_execnz .LBB27_216
	s_branch .LBB27_217
.LBB27_261:
	s_movk_i32 s4, 0x1ff
	v_mul_lo_u32 v6, v2, s4
	v_ashrrev_i32_e32 v10, 9, v6
	v_lshlrev_b32_e32 v6, 2, v10
	ds_read_b32 v6, v6 offset:1024
	v_add_u32_e32 v11, 1, v10
	s_waitcnt lgkmcnt(0)
	v_cmp_lt_i32_e32 vcc, v6, v8
	v_cndmask_b32_e32 v6, 0, v11, vcc
	v_cndmask_b32_e32 v10, v10, v2, vcc
	s_or_b64 exec, exec, s[0:1]
	v_cmp_lt_i32_e32 vcc, v6, v10
	s_and_saveexec_b64 s[0:1], vcc
	s_cbranch_execz .LBB27_253
.LBB27_262:
	v_sub_u32_e32 v11, v6, v10
	v_lshl_add_u32 v11, v10, 7, v11
	v_ashrrev_i32_e32 v11, 7, v11
	v_lshlrev_b32_e32 v12, 2, v11
	ds_read_b32 v12, v12 offset:1024
	v_add_u32_e32 v13, 1, v11
	s_waitcnt lgkmcnt(0)
	v_cmp_lt_i32_e32 vcc, v12, v8
	v_cndmask_b32_e32 v6, v6, v13, vcc
	v_cndmask_b32_e32 v10, v11, v10, vcc
	s_or_b64 exec, exec, s[0:1]
	v_cmp_lt_i32_e32 vcc, v6, v10
	s_and_saveexec_b64 s[0:1], vcc
	s_cbranch_execz .LBB27_254
.LBB27_263:
	v_sub_u32_e32 v11, v6, v10
	v_lshl_add_u32 v11, v10, 5, v11
	v_ashrrev_i32_e32 v11, 5, v11
	v_lshlrev_b32_e32 v12, 2, v11
	ds_read_b32 v12, v12 offset:1024
	v_add_u32_e32 v13, 1, v11
	s_waitcnt lgkmcnt(0)
	v_cmp_lt_i32_e32 vcc, v12, v8
	v_cndmask_b32_e32 v6, v6, v13, vcc
	v_cndmask_b32_e32 v10, v11, v10, vcc
	s_or_b64 exec, exec, s[0:1]
	v_cmp_lt_i32_e32 vcc, v6, v10
	s_and_saveexec_b64 s[0:1], vcc
	s_cbranch_execz .LBB27_255
.LBB27_264:
	v_sub_u32_e32 v11, v6, v10
	v_lshl_add_u32 v11, v10, 4, v11
	v_ashrrev_i32_e32 v11, 4, v11
	v_lshlrev_b32_e32 v12, 2, v11
	ds_read_b32 v12, v12 offset:1024
	v_add_u32_e32 v13, 1, v11
	s_waitcnt lgkmcnt(0)
	v_cmp_lt_i32_e32 vcc, v12, v8
	v_cndmask_b32_e32 v6, v6, v13, vcc
	v_cndmask_b32_e32 v10, v11, v10, vcc
	s_or_b64 exec, exec, s[0:1]
	v_cmp_lt_i32_e32 vcc, v6, v10
	s_and_saveexec_b64 s[0:1], vcc
	s_cbranch_execz .LBB27_268
.LBB27_265:
	s_mov_b64 s[4:5], 0
.LBB27_266:                             ; =>This Inner Loop Header: Depth=1
	v_sub_u32_e32 v11, v6, v10
	v_lshl_add_u32 v11, v10, 1, v11
	v_ashrrev_i32_e32 v11, 1, v11
	v_lshlrev_b32_e32 v12, 2, v11
	ds_read_b32 v12, v12 offset:1024
	v_add_u32_e32 v13, 1, v11
	s_waitcnt lgkmcnt(0)
	v_cmp_lt_i32_e32 vcc, v12, v8
	v_cndmask_b32_e32 v6, v6, v13, vcc
	v_cndmask_b32_e32 v10, v11, v10, vcc
	v_cmp_ge_i32_e32 vcc, v6, v10
	s_or_b64 s[4:5], vcc, s[4:5]
	s_andn2_b64 exec, exec, s[4:5]
	s_cbranch_execnz .LBB27_266
; %bb.267:
	s_or_b64 exec, exec, s[4:5]
.LBB27_268:
	s_or_b64 exec, exec, s[0:1]
	v_mov_b32_e32 v10, 0
	v_cmp_lt_i32_e32 vcc, 0, v9
	v_mov_b32_e32 v11, v9
	s_and_saveexec_b64 s[0:1], vcc
	s_cbranch_execnz .LBB27_273
; %bb.269:
	s_or_b64 exec, exec, s[0:1]
	v_cmp_lt_i32_e32 vcc, v10, v11
	s_and_saveexec_b64 s[0:1], vcc
	s_cbranch_execnz .LBB27_274
.LBB27_270:
	s_or_b64 exec, exec, s[0:1]
	v_cmp_lt_i32_e32 vcc, v10, v11
	s_and_saveexec_b64 s[0:1], vcc
	s_cbranch_execnz .LBB27_275
.LBB27_271:
	s_or_b64 exec, exec, s[0:1]
	v_cmp_lt_i32_e32 vcc, v10, v11
	s_and_saveexec_b64 s[0:1], vcc
	s_cbranch_execnz .LBB27_276
.LBB27_272:
	s_or_b64 exec, exec, s[0:1]
	v_cmp_lt_i32_e32 vcc, v10, v11
	s_and_saveexec_b64 s[0:1], vcc
	s_cbranch_execnz .LBB27_277
	s_branch .LBB27_280
.LBB27_273:
	s_movk_i32 s4, 0x1ff
	v_mul_lo_u32 v10, v9, s4
	v_lshrrev_b32_e32 v11, 9, v10
	v_lshl_add_u32 v10, v11, 2, v5
	ds_read_b32 v10, v10 offset:1024
	v_add_u32_e32 v12, 1, v11
	s_waitcnt lgkmcnt(0)
	v_cmp_lt_i32_e32 vcc, v10, v8
	v_cndmask_b32_e32 v10, 0, v12, vcc
	v_cndmask_b32_e32 v11, v11, v9, vcc
	s_or_b64 exec, exec, s[0:1]
	v_cmp_lt_i32_e32 vcc, v10, v11
	s_and_saveexec_b64 s[0:1], vcc
	s_cbranch_execz .LBB27_270
.LBB27_274:
	v_sub_u32_e32 v12, v10, v11
	v_lshl_add_u32 v12, v11, 7, v12
	v_ashrrev_i32_e32 v12, 7, v12
	v_lshl_add_u32 v13, v12, 2, v5
	ds_read_b32 v13, v13 offset:1024
	v_add_u32_e32 v14, 1, v12
	s_waitcnt lgkmcnt(0)
	v_cmp_lt_i32_e32 vcc, v13, v8
	v_cndmask_b32_e32 v10, v10, v14, vcc
	v_cndmask_b32_e32 v11, v12, v11, vcc
	s_or_b64 exec, exec, s[0:1]
	v_cmp_lt_i32_e32 vcc, v10, v11
	s_and_saveexec_b64 s[0:1], vcc
	s_cbranch_execz .LBB27_271
.LBB27_275:
	v_sub_u32_e32 v12, v10, v11
	v_lshl_add_u32 v12, v11, 5, v12
	v_ashrrev_i32_e32 v12, 5, v12
	v_lshl_add_u32 v13, v12, 2, v5
	ds_read_b32 v13, v13 offset:1024
	v_add_u32_e32 v14, 1, v12
	s_waitcnt lgkmcnt(0)
	v_cmp_lt_i32_e32 vcc, v13, v8
	v_cndmask_b32_e32 v10, v10, v14, vcc
	v_cndmask_b32_e32 v11, v12, v11, vcc
	s_or_b64 exec, exec, s[0:1]
	v_cmp_lt_i32_e32 vcc, v10, v11
	s_and_saveexec_b64 s[0:1], vcc
	s_cbranch_execz .LBB27_272
.LBB27_276:
	v_sub_u32_e32 v12, v10, v11
	v_lshl_add_u32 v12, v11, 4, v12
	v_ashrrev_i32_e32 v12, 4, v12
	v_lshl_add_u32 v13, v12, 2, v5
	ds_read_b32 v13, v13 offset:1024
	v_add_u32_e32 v14, 1, v12
	s_waitcnt lgkmcnt(0)
	v_cmp_lt_i32_e32 vcc, v13, v8
	v_cndmask_b32_e32 v10, v10, v14, vcc
	v_cndmask_b32_e32 v11, v12, v11, vcc
	s_or_b64 exec, exec, s[0:1]
	v_cmp_lt_i32_e32 vcc, v10, v11
	s_and_saveexec_b64 s[0:1], vcc
	s_cbranch_execz .LBB27_280
.LBB27_277:
	s_mov_b64 s[4:5], 0
.LBB27_278:                             ; =>This Inner Loop Header: Depth=1
	v_sub_u32_e32 v12, v10, v11
	v_lshl_add_u32 v12, v11, 1, v12
	v_ashrrev_i32_e32 v12, 1, v12
	v_lshl_add_u32 v13, v12, 2, v5
	ds_read_b32 v13, v13 offset:1024
	v_add_u32_e32 v14, 1, v12
	s_waitcnt lgkmcnt(0)
	v_cmp_lt_i32_e32 vcc, v13, v8
	v_cndmask_b32_e32 v10, v10, v14, vcc
	v_cndmask_b32_e32 v11, v12, v11, vcc
	v_cmp_ge_i32_e32 vcc, v10, v11
	s_or_b64 s[4:5], vcc, s[4:5]
	s_andn2_b64 exec, exec, s[4:5]
	s_cbranch_execnz .LBB27_278
; %bb.279:
	s_or_b64 exec, exec, s[4:5]
.LBB27_280:
	s_or_b64 exec, exec, s[0:1]
	v_sub_u32_e32 v2, v2, v6
	v_sub_u32_e32 v12, v9, v10
	v_add_u32_e32 v11, v12, v2
	v_ashrrev_i32_e32 v2, 1, v11
	v_max_i32_e32 v2, v2, v12
	v_add3_u32 v10, v10, v2, 1
	v_min_i32_e32 v10, v10, v19
	v_sub_u32_e32 v10, v10, v9
	v_mov_b32_e32 v9, 0
	v_cmp_lt_i32_e32 vcc, 0, v10
	s_and_saveexec_b64 s[0:1], vcc
	s_cbranch_execz .LBB27_284
; %bb.281:
	v_mov_b32_e32 v9, 0
	s_mov_b64 s[4:5], 0
.LBB27_282:                             ; =>This Inner Loop Header: Depth=1
	v_add_u32_e32 v13, v9, v10
	v_lshrrev_b32_e32 v13, 1, v13
	v_lshl_add_u32 v14, v13, 2, v7
	ds_read_b32 v14, v14 offset:1024
	v_add_u32_e32 v15, 1, v13
	s_waitcnt lgkmcnt(0)
	v_cmp_lt_i32_e32 vcc, v8, v14
	v_cndmask_b32_e32 v9, v15, v9, vcc
	v_cndmask_b32_e32 v10, v10, v13, vcc
	v_cmp_ge_i32_e32 vcc, v9, v10
	s_or_b64 s[4:5], vcc, s[4:5]
	s_andn2_b64 exec, exec, s[4:5]
	s_cbranch_execnz .LBB27_282
; %bb.283:
	s_or_b64 exec, exec, s[4:5]
.LBB27_284:
	s_or_b64 exec, exec, s[0:1]
	v_add_u32_e32 v7, v9, v12
	s_waitcnt lgkmcnt(0)
	v_min_i32_e32 v8, v7, v2
	v_sub_u32_e32 v9, v11, v8
	v_add_u32_e32 v8, 1, v8
	v_cmp_eq_u32_e32 vcc, v9, v8
	v_cmp_lt_i32_e64 s[0:1], v2, v7
	s_and_b64 s[0:1], s[0:1], vcc
	v_cndmask_b32_e64 v7, 0, 1, s[0:1]
	v_add_u32_e32 v2, v9, v6
.LBB27_285:
	s_or_b64 exec, exec, s[2:3]
	v_add_u32_e32 v3, v7, v3
	v_sub_u32_e32 v7, v3, v2
	v_lshlrev_b32_e32 v6, 16, v18
	v_or_b32_e32 v6, v6, v19
	v_lshl_or_b32 v8, v2, 16, v7
	v_subrev_co_u32_e64 v9, s[0:1], 1, v0
	v_cndmask_b32_e64 v6, v8, v6, s[0:1]
	v_mov_b32_e32 v8, 0xff
	v_cndmask_b32_e64 v8, v9, v8, s[0:1]
	v_lshlrev_b32_e32 v8, 2, v8
	ds_write_b32 v8, v6
	s_waitcnt lgkmcnt(0)
	s_barrier
	v_lshlrev_b32_e32 v8, 2, v2
	v_lshl_add_u32 v5, v7, 2, v5
	ds_read_b32 v6, v4
	ds_read_b32 v19, v8 offset:1024
	ds_read_b32 v20, v5 offset:1024
	s_waitcnt lgkmcnt(2)
	v_cmp_le_i32_sdwa s[6:7], v6, v7 src0_sel:WORD_0 src1_sel:DWORD
	v_cmp_le_i32_sdwa s[4:5], sext(v6), v2 src0_sel:WORD_1 src1_sel:DWORD
	s_waitcnt lgkmcnt(0)
	v_cmp_lt_i32_e32 vcc, v20, v19
	v_cndmask_b32_e64 v4, 0, 1, vcc
	v_cndmask_b32_e64 v9, 0, 1, s[4:5]
	s_or_b64 s[2:3], s[4:5], s[6:7]
	v_cndmask_b32_e64 v4, v4, v9, s[2:3]
	v_and_b32_e32 v4, 1, v4
	v_cmp_eq_u32_e32 vcc, 1, v4
	s_xor_b64 s[10:11], vcc, -1
	v_mov_b32_e32 v21, v19
	s_and_saveexec_b64 s[8:9], s[10:11]
; %bb.286:
	ds_read_b32 v21, v8 offset:1028
	v_add_u32_e32 v2, 1, v2
; %bb.287:
	s_or_b64 exec, exec, s[8:9]
	s_xor_b64 s[8:9], s[4:5], -1
	v_cmp_lt_i32_e64 s[4:5], v19, v20
	v_add_u32_e32 v4, v7, v18
	v_cndmask_b32_e64 v7, 0, 1, s[4:5]
	s_and_b64 s[4:5], s[6:7], s[8:9]
	v_cndmask_b32_e64 v8, 0, 1, s[4:5]
	v_cndmask_b32_e64 v7, v7, v8, s[2:3]
	v_and_b32_e32 v7, 1, v7
	v_cmp_eq_u32_e64 s[2:3], 1, v7
	s_xor_b64 s[6:7], s[2:3], -1
	v_mov_b32_e32 v22, v20
	s_and_saveexec_b64 s[4:5], s[6:7]
; %bb.288:
	ds_read_b32 v22, v5 offset:1028
	v_add_u32_e32 v4, 1, v4
; %bb.289:
	s_or_b64 exec, exec, s[4:5]
	v_add_u32_sdwa v9, v6, v18 dst_sel:DWORD dst_unused:UNUSED_PAD src0_sel:WORD_0 src1_sel:DWORD
	v_cmp_ge_i32_e64 s[4:5], v4, v9
	v_cmp_ge_i32_sdwa s[8:9], v2, sext(v6) src0_sel:DWORD src1_sel:WORD_1
	s_waitcnt lgkmcnt(0)
	v_cmp_lt_i32_e64 s[6:7], v22, v21
	v_cndmask_b32_e64 v5, 0, 1, s[8:9]
	v_cndmask_b32_e64 v7, 0, 1, s[6:7]
	s_or_b64 s[6:7], s[8:9], s[4:5]
	v_cndmask_b32_e64 v5, v7, v5, s[6:7]
	v_and_b32_e32 v5, 1, v5
	v_cmp_eq_u32_e64 s[36:37], 1, v5
	s_xor_b64 s[10:11], s[36:37], -1
	v_mov_b32_e32 v23, v21
	v_mov_b32_e32 v5, v2
	s_and_saveexec_b64 s[6:7], s[10:11]
; %bb.290:
	v_lshlrev_b32_e32 v5, 2, v2
	ds_read_b32 v23, v5 offset:1028
	v_add_u32_e32 v5, 1, v2
; %bb.291:
	s_or_b64 exec, exec, s[6:7]
	v_cmp_lt_i32_e64 s[6:7], v21, v22
	s_or_b64 s[4:5], s[4:5], s[6:7]
	s_xor_b64 s[6:7], s[8:9], -1
	s_and_b64 s[4:5], s[6:7], s[4:5]
	s_xor_b64 s[8:9], s[4:5], -1
	v_mov_b32_e32 v24, v22
	v_mov_b32_e32 v7, v4
	s_and_saveexec_b64 s[6:7], s[8:9]
; %bb.292:
	v_lshlrev_b32_e32 v7, 2, v4
	ds_read_b32 v24, v7 offset:1028
	v_add_u32_e32 v7, 1, v4
; %bb.293:
	s_or_b64 exec, exec, s[6:7]
	v_cmp_ge_i32_e64 s[6:7], v7, v9
	v_cmp_ge_i32_sdwa s[10:11], v5, sext(v6) src0_sel:DWORD src1_sel:WORD_1
	s_waitcnt lgkmcnt(0)
	v_cmp_lt_i32_e64 s[8:9], v24, v23
	v_cndmask_b32_e64 v8, 0, 1, s[10:11]
	v_cndmask_b32_e64 v10, 0, 1, s[8:9]
	s_or_b64 s[8:9], s[10:11], s[6:7]
	v_cndmask_b32_e64 v8, v10, v8, s[8:9]
	v_and_b32_e32 v8, 1, v8
	v_cmp_eq_u32_e64 s[38:39], 1, v8
	s_xor_b64 s[12:13], s[38:39], -1
	v_mov_b32_e32 v25, v23
	v_mov_b32_e32 v8, v5
	s_and_saveexec_b64 s[8:9], s[12:13]
; %bb.294:
	v_lshlrev_b32_e32 v8, 2, v5
	ds_read_b32 v25, v8 offset:1028
	v_add_u32_e32 v8, 1, v5
; %bb.295:
	s_or_b64 exec, exec, s[8:9]
	v_cmp_lt_i32_e64 s[8:9], v23, v24
	s_or_b64 s[6:7], s[6:7], s[8:9]
	s_xor_b64 s[8:9], s[10:11], -1
	s_and_b64 s[6:7], s[8:9], s[6:7]
	s_xor_b64 s[10:11], s[6:7], -1
	v_mov_b32_e32 v26, v24
	v_mov_b32_e32 v10, v7
	s_and_saveexec_b64 s[8:9], s[10:11]
; %bb.296:
	v_lshlrev_b32_e32 v10, 2, v7
	ds_read_b32 v26, v10 offset:1028
	v_add_u32_e32 v10, 1, v7
; %bb.297:
	s_or_b64 exec, exec, s[8:9]
	;; [unrolled: 34-line block ×14, first 2 shown]
	v_cmp_ge_i32_e64 s[34:35], v67, v9
	v_cmp_ge_i32_sdwa s[76:77], v66, sext(v6) src0_sel:DWORD src1_sel:WORD_1
	s_waitcnt lgkmcnt(0)
	v_cmp_lt_i32_e64 s[66:67], v50, v49
	v_cndmask_b32_e64 v68, 0, 1, s[76:77]
	v_cndmask_b32_e64 v69, 0, 1, s[66:67]
	s_or_b64 s[66:67], s[76:77], s[34:35]
	v_cmp_lt_i32_e64 s[64:65], v49, v50
	v_cndmask_b32_e64 v68, v69, v68, s[66:67]
	v_cmp_lt_i32_sdwa s[70:71], v66, sext(v6) src0_sel:DWORD src1_sel:WORD_1
	v_and_b32_e32 v68, 1, v68
	s_or_b64 s[34:35], s[34:35], s[64:65]
	v_cmp_eq_u32_e64 s[66:67], 1, v68
	s_and_b64 s[34:35], s[70:71], s[34:35]
	v_add_u32_e32 v66, v67, v66
	v_add_u32_sdwa v6, v9, sext(v6) dst_sel:DWORD dst_unused:UNUSED_PAD src0_sel:DWORD src1_sel:WORD_1
	v_cmp_lt_i32_e64 s[64:65], v66, v6
	s_xor_b64 s[66:67], s[66:67], s[34:35]
	v_mov_b32_e32 v9, 0x8000
	s_and_b64 s[64:65], s[64:65], s[66:67]
	v_add_u32_e32 v64, v65, v64
	v_cndmask_b32_e64 v9, 0, v9, s[64:65]
	v_cmp_lt_i32_e64 s[64:65], v64, v6
	s_xor_b64 s[62:63], s[62:63], s[30:31]
	v_mov_b32_e32 v64, 0x4000
	s_and_b64 s[62:63], s[64:65], s[62:63]
	v_add_u32_e32 v62, v63, v62
	v_cndmask_b32_e64 v64, 0, v64, s[62:63]
	;; [unrolled: 6-line block ×9, first 2 shown]
	v_cmp_lt_i32_e64 s[48:49], v15, v6
	s_xor_b64 s[46:47], s[46:47], s[14:15]
	s_and_b64 s[46:47], s[48:49], s[46:47]
	v_add_u32_e32 v13, v14, v13
	v_cndmask_b32_e64 v15, 0, 64, s[46:47]
	v_cmp_lt_i32_e64 s[46:47], v13, v6
	s_xor_b64 s[44:45], s[44:45], s[12:13]
	v_add_u32_e32 v11, v12, v11
	s_and_b64 s[46:47], s[46:47], s[44:45]
	v_cmp_lt_i32_e64 s[44:45], v11, v6
	s_xor_b64 s[42:43], s[42:43], s[10:11]
	v_add_u32_e32 v8, v10, v8
	s_and_b64 s[44:45], s[44:45], s[42:43]
	;; [unrolled: 4-line block ×5, first 2 shown]
	v_cmp_lt_i32_e64 s[36:37], v3, v6
	s_xor_b64 s[38:39], vcc, s[2:3]
	s_and_b64 s[50:51], s[36:37], s[38:39]
	v_cndmask_b32_e64 v5, 0, 4, s[40:41]
	v_cndmask_b32_e64 v2, 0, 2, s[48:49]
	;; [unrolled: 1-line block ×5, first 2 shown]
	v_or3_b32 v2, v2, v3, v5
	v_cndmask_b32_e64 v13, 0, 32, s[46:47]
	v_or3_b32 v2, v2, v8, v11
	v_or3_b32 v56, v2, v13, v15
	v_or_b32_e32 v55, v17, v56
	v_or3_b32 v54, v52, v54, v55
	v_or3_b32 v53, v57, v58, v54
	;; [unrolled: 1-line block ×4, first 2 shown]
	v_bcnt_u32_b32 v10, v51, 0
	v_mov_b32_e32 v11, 0
	s_cmp_lg_u32 s74, 0
	v_mbcnt_lo_u32_b32 v57, -1, 0
	s_barrier
	s_cbranch_scc0 .LBB27_399
; %bb.346:
	v_mbcnt_hi_u32_b32 v17, -1, v57
	v_and_b32_e32 v7, 15, v17
	v_mov_b32_e32 v4, v10
	v_mov_b32_dpp v2, v10 row_shr:1 row_mask:0xf bank_mask:0xf
	v_mov_b32_dpp v8, v11 row_shr:1 row_mask:0xf bank_mask:0xf
	v_cmp_ne_u32_e32 vcc, 0, v7
	v_mov_b32_e32 v6, v10
	v_mov_b32_e32 v3, v11
	;; [unrolled: 1-line block ×3, first 2 shown]
	s_and_saveexec_b64 s[36:37], vcc
; %bb.347:
	v_add_co_u32_e32 v6, vcc, v2, v10
	v_addc_co_u32_e64 v3, s[38:39], 0, 0, vcc
	v_add_co_u32_e32 v2, vcc, 0, v6
	v_addc_co_u32_e32 v3, vcc, v8, v3, vcc
	v_mov_b32_e32 v5, v3
	v_mov_b32_e32 v4, v2
; %bb.348:
	s_or_b64 exec, exec, s[36:37]
	v_mov_b32_dpp v2, v6 row_shr:2 row_mask:0xf bank_mask:0xf
	v_mov_b32_dpp v8, v3 row_shr:2 row_mask:0xf bank_mask:0xf
	v_cmp_lt_u32_e32 vcc, 1, v7
	s_and_saveexec_b64 s[36:37], vcc
; %bb.349:
	v_add_co_u32_e32 v6, vcc, v4, v2
	v_addc_co_u32_e32 v3, vcc, 0, v5, vcc
	v_add_co_u32_e32 v2, vcc, 0, v6
	v_addc_co_u32_e32 v3, vcc, v8, v3, vcc
	v_mov_b32_e32 v5, v3
	v_mov_b32_e32 v4, v2
; %bb.350:
	s_or_b64 exec, exec, s[36:37]
	v_mov_b32_dpp v2, v6 row_shr:4 row_mask:0xf bank_mask:0xf
	v_mov_b32_dpp v8, v3 row_shr:4 row_mask:0xf bank_mask:0xf
	v_cmp_lt_u32_e32 vcc, 3, v7
	s_and_saveexec_b64 s[36:37], vcc
; %bb.351:
	v_add_co_u32_e32 v6, vcc, v4, v2
	v_addc_co_u32_e32 v3, vcc, 0, v5, vcc
	;; [unrolled: 13-line block ×3, first 2 shown]
	v_add_co_u32_e32 v2, vcc, 0, v6
	v_addc_co_u32_e32 v3, vcc, v8, v3, vcc
	v_mov_b32_e32 v5, v3
	v_mov_b32_e32 v4, v2
; %bb.354:
	s_or_b64 exec, exec, s[36:37]
	v_and_b32_e32 v8, 16, v17
	v_mov_b32_dpp v2, v6 row_bcast:15 row_mask:0xf bank_mask:0xf
	v_mov_b32_dpp v7, v3 row_bcast:15 row_mask:0xf bank_mask:0xf
	v_cmp_ne_u32_e32 vcc, 0, v8
	s_and_saveexec_b64 s[36:37], vcc
; %bb.355:
	v_add_co_u32_e32 v6, vcc, v4, v2
	v_addc_co_u32_e32 v3, vcc, 0, v5, vcc
	v_add_co_u32_e32 v2, vcc, 0, v6
	v_addc_co_u32_e32 v3, vcc, v7, v3, vcc
	v_mov_b32_e32 v5, v3
	v_mov_b32_e32 v4, v2
; %bb.356:
	s_or_b64 exec, exec, s[36:37]
	v_mov_b32_dpp v8, v6 row_bcast:31 row_mask:0xf bank_mask:0xf
	v_add_co_u32_e64 v8, s[36:37], v4, v8
	v_mov_b32_dpp v2, v3 row_bcast:31 row_mask:0xf bank_mask:0xf
	v_addc_co_u32_e64 v3, s[36:37], 0, v5, s[36:37]
	v_or_b32_e32 v9, 63, v0
	v_lshrrev_b32_e32 v7, 6, v0
	v_cmp_lt_u32_e32 vcc, 31, v17
	v_cmp_eq_u32_e64 s[36:37], v0, v9
	s_and_saveexec_b64 s[38:39], s[36:37]
	s_cbranch_execz .LBB27_358
; %bb.357:
	v_add_co_u32_e64 v12, s[36:37], 0, v8
	v_addc_co_u32_e64 v2, s[36:37], v2, v3, s[36:37]
	v_lshlrev_b32_e32 v9, 3, v7
	v_cndmask_b32_e32 v3, v5, v2, vcc
	v_cndmask_b32_e32 v2, v4, v12, vcc
	ds_write_b64 v9, v[2:3]
.LBB27_358:
	s_or_b64 exec, exec, s[38:39]
	v_cmp_gt_u32_e64 s[36:37], 4, v0
	s_waitcnt lgkmcnt(0)
	s_barrier
	s_and_saveexec_b64 s[38:39], s[36:37]
	s_cbranch_execz .LBB27_362
; %bb.359:
	v_lshlrev_b32_e32 v4, 3, v0
	ds_read_b64 v[2:3], v4
	v_and_b32_e32 v5, 3, v17
	v_cmp_ne_u32_e64 s[36:37], 0, v5
	s_waitcnt lgkmcnt(0)
	v_mov_b32_dpp v13, v2 row_shr:1 row_mask:0xf bank_mask:0xf
	v_mov_b32_dpp v12, v3 row_shr:1 row_mask:0xf bank_mask:0xf
	v_mov_b32_e32 v9, v2
	s_and_saveexec_b64 s[52:53], s[36:37]
; %bb.360:
	v_add_co_u32_e64 v9, s[36:37], v2, v13
	v_addc_co_u32_e64 v3, s[36:37], 0, v3, s[36:37]
	v_add_co_u32_e64 v2, s[36:37], 0, v9
	v_addc_co_u32_e64 v3, s[36:37], v12, v3, s[36:37]
; %bb.361:
	s_or_b64 exec, exec, s[52:53]
	v_mov_b32_dpp v9, v9 row_shr:2 row_mask:0xf bank_mask:0xf
	v_add_co_u32_e64 v9, s[36:37], v2, v9
	v_addc_co_u32_e64 v13, s[36:37], 0, v3, s[36:37]
	v_mov_b32_dpp v12, v3 row_shr:2 row_mask:0xf bank_mask:0xf
	v_add_co_u32_e64 v9, s[36:37], 0, v9
	v_addc_co_u32_e64 v12, s[36:37], v13, v12, s[36:37]
	v_cmp_lt_u32_e64 s[36:37], 1, v5
	v_cndmask_b32_e64 v3, v3, v12, s[36:37]
	v_cndmask_b32_e64 v2, v2, v9, s[36:37]
	ds_write_b64 v4, v[2:3]
.LBB27_362:
	s_or_b64 exec, exec, s[38:39]
	v_cndmask_b32_e32 v2, v6, v8, vcc
	v_cmp_gt_u32_e32 vcc, 64, v0
	v_cmp_lt_u32_e64 s[36:37], 63, v0
	s_waitcnt lgkmcnt(0)
	s_barrier
                                        ; implicit-def: $vgpr12_vgpr13
	s_and_saveexec_b64 s[38:39], s[36:37]
	s_cbranch_execz .LBB27_364
; %bb.363:
	v_lshl_add_u32 v3, v7, 3, -8
	ds_read_b64 v[12:13], v3
	s_waitcnt lgkmcnt(0)
	v_add_u32_e32 v2, v2, v12
.LBB27_364:
	s_or_b64 exec, exec, s[38:39]
	v_subrev_co_u32_e64 v3, s[36:37], 1, v17
	v_and_b32_e32 v4, 64, v17
	v_cmp_lt_i32_e64 s[38:39], v3, v4
	v_cndmask_b32_e64 v3, v3, v17, s[38:39]
	v_lshlrev_b32_e32 v3, 2, v3
	ds_bpermute_b32 v58, v3, v2
	s_and_saveexec_b64 s[38:39], vcc
	s_cbranch_execz .LBB27_404
; %bb.365:
	v_mov_b32_e32 v5, 0
	ds_read_b64 v[2:3], v5 offset:24
	s_and_saveexec_b64 s[52:53], s[36:37]
	s_cbranch_execz .LBB27_367
; %bb.366:
	s_add_i32 s54, s74, 64
	s_mov_b32 s55, 0
	s_lshl_b64 s[54:55], s[54:55], 4
	s_add_u32 s54, s72, s54
	s_addc_u32 s55, s73, s55
	v_mov_b32_e32 v6, s54
	v_mov_b32_e32 v4, 1
	;; [unrolled: 1-line block ×3, first 2 shown]
	s_waitcnt lgkmcnt(0)
	;;#ASMSTART
	global_store_dwordx4 v[6:7], v[2:5] off	
s_waitcnt vmcnt(0)
	;;#ASMEND
.LBB27_367:
	s_or_b64 exec, exec, s[52:53]
	v_xad_u32 v13, v17, -1, s74
	v_add_u32_e32 v4, 64, v13
	v_lshlrev_b64 v[6:7], 4, v[4:5]
	v_mov_b32_e32 v4, s73
	v_add_co_u32_e32 v14, vcc, s72, v6
	v_addc_co_u32_e32 v15, vcc, v4, v7, vcc
	;;#ASMSTART
	global_load_dwordx4 v[6:9], v[14:15] off glc	
s_waitcnt vmcnt(0)
	;;#ASMEND
	v_cmp_eq_u16_sdwa s[54:55], v8, v5 src0_sel:BYTE_0 src1_sel:DWORD
	s_and_saveexec_b64 s[52:53], s[54:55]
	s_cbranch_execz .LBB27_371
; %bb.368:
	s_mov_b64 s[54:55], 0
	v_mov_b32_e32 v4, 0
.LBB27_369:                             ; =>This Inner Loop Header: Depth=1
	;;#ASMSTART
	global_load_dwordx4 v[6:9], v[14:15] off glc	
s_waitcnt vmcnt(0)
	;;#ASMEND
	v_cmp_ne_u16_sdwa s[56:57], v8, v4 src0_sel:BYTE_0 src1_sel:DWORD
	s_or_b64 s[54:55], s[56:57], s[54:55]
	s_andn2_b64 exec, exec, s[54:55]
	s_cbranch_execnz .LBB27_369
; %bb.370:
	s_or_b64 exec, exec, s[54:55]
.LBB27_371:
	s_or_b64 exec, exec, s[52:53]
	v_and_b32_e32 v59, 63, v17
	v_mov_b32_e32 v4, 2
	v_lshlrev_b64 v[15:16], v17, -1
	v_cmp_ne_u32_e32 vcc, 63, v59
	v_cmp_eq_u16_sdwa s[52:53], v8, v4 src0_sel:BYTE_0 src1_sel:DWORD
	v_addc_co_u32_e32 v9, vcc, 0, v17, vcc
	v_and_b32_e32 v4, s53, v16
	v_lshlrev_b32_e32 v60, 2, v9
	v_or_b32_e32 v4, 0x80000000, v4
	ds_bpermute_b32 v14, v60, v6
	ds_bpermute_b32 v9, v60, v7
	v_and_b32_e32 v5, s52, v15
	v_ffbl_b32_e32 v4, v4
	v_add_u32_e32 v4, 32, v4
	v_ffbl_b32_e32 v5, v5
	v_min_u32_e32 v4, v5, v4
	v_cmp_lt_u32_e32 vcc, v59, v4
	v_mov_b32_e32 v5, v6
	s_and_saveexec_b64 s[52:53], vcc
	s_cbranch_execz .LBB27_373
; %bb.372:
	s_waitcnt lgkmcnt(1)
	v_add_co_u32_e32 v5, vcc, v6, v14
	v_addc_co_u32_e32 v7, vcc, 0, v7, vcc
	v_add_co_u32_e32 v6, vcc, 0, v5
	s_waitcnt lgkmcnt(0)
	v_addc_co_u32_e32 v7, vcc, v9, v7, vcc
.LBB27_373:
	s_or_b64 exec, exec, s[52:53]
	v_cmp_gt_u32_e32 vcc, 62, v59
	s_waitcnt lgkmcnt(0)
	v_cndmask_b32_e64 v9, 0, 2, vcc
	v_add_lshl_u32 v61, v9, v17, 2
	ds_bpermute_b32 v14, v61, v5
	ds_bpermute_b32 v9, v61, v7
	v_add_u32_e32 v62, 2, v59
	v_cmp_le_u32_e32 vcc, v62, v4
	s_and_saveexec_b64 s[52:53], vcc
	s_cbranch_execz .LBB27_375
; %bb.374:
	s_waitcnt lgkmcnt(1)
	v_add_co_u32_e32 v5, vcc, v6, v14
	v_addc_co_u32_e32 v7, vcc, 0, v7, vcc
	v_add_co_u32_e32 v6, vcc, 0, v5
	s_waitcnt lgkmcnt(0)
	v_addc_co_u32_e32 v7, vcc, v9, v7, vcc
.LBB27_375:
	s_or_b64 exec, exec, s[52:53]
	v_cmp_gt_u32_e32 vcc, 60, v59
	s_waitcnt lgkmcnt(0)
	v_cndmask_b32_e64 v9, 0, 4, vcc
	v_add_lshl_u32 v63, v9, v17, 2
	ds_bpermute_b32 v14, v63, v5
	ds_bpermute_b32 v9, v63, v7
	v_add_u32_e32 v64, 4, v59
	v_cmp_le_u32_e32 vcc, v64, v4
	;; [unrolled: 19-line block ×4, first 2 shown]
	s_and_saveexec_b64 s[52:53], vcc
	s_cbranch_execz .LBB27_381
; %bb.380:
	s_waitcnt lgkmcnt(1)
	v_add_co_u32_e32 v5, vcc, v6, v14
	v_addc_co_u32_e32 v7, vcc, 0, v7, vcc
	v_add_co_u32_e32 v6, vcc, 0, v5
	s_waitcnt lgkmcnt(0)
	v_addc_co_u32_e32 v7, vcc, v9, v7, vcc
.LBB27_381:
	s_or_b64 exec, exec, s[52:53]
	s_waitcnt lgkmcnt(0)
	v_mov_b32_e32 v9, 0x80
	v_lshl_or_b32 v69, v17, 2, v9
	ds_bpermute_b32 v5, v69, v5
	ds_bpermute_b32 v9, v69, v7
	v_add_u32_e32 v70, 32, v59
	v_mov_b32_e32 v14, 0
	v_mov_b32_e32 v71, 2
	s_waitcnt lgkmcnt(1)
	v_add_co_u32_e32 v5, vcc, v6, v5
	v_addc_co_u32_e32 v17, vcc, 0, v7, vcc
	v_add_co_u32_e32 v5, vcc, 0, v5
	s_waitcnt lgkmcnt(0)
	v_addc_co_u32_e32 v9, vcc, v17, v9, vcc
	v_cmp_gt_u32_e32 vcc, v70, v4
	v_cndmask_b32_e32 v7, v9, v7, vcc
	v_cndmask_b32_e32 v6, v5, v6, vcc
	s_branch .LBB27_384
.LBB27_382:                             ;   in Loop: Header=BB27_384 Depth=1
	s_or_b64 exec, exec, s[52:53]
	ds_bpermute_b32 v17, v69, v17
	s_waitcnt lgkmcnt(1)
	ds_bpermute_b32 v18, v69, v7
	v_subrev_u32_e32 v13, 64, v13
	s_mov_b64 s[52:53], 0
	s_waitcnt lgkmcnt(1)
	v_add_co_u32_e32 v17, vcc, v6, v17
	v_addc_co_u32_e32 v72, vcc, 0, v7, vcc
	v_add_co_u32_e32 v17, vcc, 0, v17
	s_waitcnt lgkmcnt(0)
	v_addc_co_u32_e32 v18, vcc, v72, v18, vcc
	v_cmp_gt_u32_e32 vcc, v70, v9
	v_cndmask_b32_e32 v6, v17, v6, vcc
	v_cndmask_b32_e32 v7, v18, v7, vcc
	v_add_co_u32_e32 v6, vcc, v6, v4
	v_addc_co_u32_e32 v7, vcc, v7, v5, vcc
.LBB27_383:                             ;   in Loop: Header=BB27_384 Depth=1
	s_and_b64 vcc, exec, s[52:53]
	s_cbranch_vccnz .LBB27_400
.LBB27_384:                             ; =>This Loop Header: Depth=1
                                        ;     Child Loop BB27_387 Depth 2
	v_mov_b32_e32 v4, v6
	v_cmp_ne_u16_sdwa s[52:53], v8, v71 src0_sel:BYTE_0 src1_sel:DWORD
	v_mov_b32_e32 v5, v7
	s_cmp_lg_u64 s[52:53], exec
	s_mov_b64 s[52:53], -1
                                        ; implicit-def: $vgpr6_vgpr7
                                        ; implicit-def: $vgpr8
	s_cbranch_scc1 .LBB27_383
; %bb.385:                              ;   in Loop: Header=BB27_384 Depth=1
	v_lshlrev_b64 v[6:7], 4, v[13:14]
	v_mov_b32_e32 v8, s73
	v_add_co_u32_e32 v17, vcc, s72, v6
	v_addc_co_u32_e32 v18, vcc, v8, v7, vcc
	;;#ASMSTART
	global_load_dwordx4 v[6:9], v[17:18] off glc	
s_waitcnt vmcnt(0)
	;;#ASMEND
	v_cmp_eq_u16_sdwa s[54:55], v8, v14 src0_sel:BYTE_0 src1_sel:DWORD
	s_and_saveexec_b64 s[52:53], s[54:55]
	s_cbranch_execz .LBB27_389
; %bb.386:                              ;   in Loop: Header=BB27_384 Depth=1
	s_mov_b64 s[54:55], 0
.LBB27_387:                             ;   Parent Loop BB27_384 Depth=1
                                        ; =>  This Inner Loop Header: Depth=2
	;;#ASMSTART
	global_load_dwordx4 v[6:9], v[17:18] off glc	
s_waitcnt vmcnt(0)
	;;#ASMEND
	v_cmp_ne_u16_sdwa s[56:57], v8, v14 src0_sel:BYTE_0 src1_sel:DWORD
	s_or_b64 s[54:55], s[56:57], s[54:55]
	s_andn2_b64 exec, exec, s[54:55]
	s_cbranch_execnz .LBB27_387
; %bb.388:                              ;   in Loop: Header=BB27_384 Depth=1
	s_or_b64 exec, exec, s[54:55]
.LBB27_389:                             ;   in Loop: Header=BB27_384 Depth=1
	s_or_b64 exec, exec, s[52:53]
	v_cmp_eq_u16_sdwa s[52:53], v8, v71 src0_sel:BYTE_0 src1_sel:DWORD
	v_and_b32_e32 v9, s53, v16
	v_or_b32_e32 v9, 0x80000000, v9
	ds_bpermute_b32 v72, v60, v6
	ds_bpermute_b32 v18, v60, v7
	v_and_b32_e32 v17, s52, v15
	v_ffbl_b32_e32 v9, v9
	v_add_u32_e32 v9, 32, v9
	v_ffbl_b32_e32 v17, v17
	v_min_u32_e32 v9, v17, v9
	v_cmp_lt_u32_e32 vcc, v59, v9
	v_mov_b32_e32 v17, v6
	s_and_saveexec_b64 s[52:53], vcc
	s_cbranch_execz .LBB27_391
; %bb.390:                              ;   in Loop: Header=BB27_384 Depth=1
	s_waitcnt lgkmcnt(1)
	v_add_co_u32_e32 v17, vcc, v6, v72
	v_addc_co_u32_e32 v7, vcc, 0, v7, vcc
	v_add_co_u32_e32 v6, vcc, 0, v17
	s_waitcnt lgkmcnt(0)
	v_addc_co_u32_e32 v7, vcc, v18, v7, vcc
.LBB27_391:                             ;   in Loop: Header=BB27_384 Depth=1
	s_or_b64 exec, exec, s[52:53]
	s_waitcnt lgkmcnt(1)
	ds_bpermute_b32 v72, v61, v17
	s_waitcnt lgkmcnt(1)
	ds_bpermute_b32 v18, v61, v7
	v_cmp_le_u32_e32 vcc, v62, v9
	s_and_saveexec_b64 s[52:53], vcc
	s_cbranch_execz .LBB27_393
; %bb.392:                              ;   in Loop: Header=BB27_384 Depth=1
	s_waitcnt lgkmcnt(1)
	v_add_co_u32_e32 v17, vcc, v6, v72
	v_addc_co_u32_e32 v7, vcc, 0, v7, vcc
	v_add_co_u32_e32 v6, vcc, 0, v17
	s_waitcnt lgkmcnt(0)
	v_addc_co_u32_e32 v7, vcc, v18, v7, vcc
.LBB27_393:                             ;   in Loop: Header=BB27_384 Depth=1
	s_or_b64 exec, exec, s[52:53]
	s_waitcnt lgkmcnt(1)
	ds_bpermute_b32 v72, v63, v17
	s_waitcnt lgkmcnt(1)
	ds_bpermute_b32 v18, v63, v7
	v_cmp_le_u32_e32 vcc, v64, v9
	;; [unrolled: 16-line block ×4, first 2 shown]
	s_and_saveexec_b64 s[52:53], vcc
	s_cbranch_execz .LBB27_382
; %bb.398:                              ;   in Loop: Header=BB27_384 Depth=1
	s_waitcnt lgkmcnt(1)
	v_add_co_u32_e32 v17, vcc, v6, v72
	v_addc_co_u32_e32 v7, vcc, 0, v7, vcc
	v_add_co_u32_e32 v6, vcc, 0, v17
	s_waitcnt lgkmcnt(0)
	v_addc_co_u32_e32 v7, vcc, v18, v7, vcc
	s_branch .LBB27_382
.LBB27_399:
                                        ; implicit-def: $vgpr4_vgpr5
                                        ; implicit-def: $vgpr6_vgpr7
	s_cbranch_execnz .LBB27_405
	s_branch .LBB27_426
.LBB27_400:
	s_and_saveexec_b64 s[52:53], s[36:37]
	s_cbranch_execz .LBB27_402
; %bb.401:
	s_add_i32 s54, s74, 64
	s_mov_b32 s55, 0
	s_lshl_b64 s[54:55], s[54:55], 4
	s_add_u32 s54, s72, s54
	v_add_co_u32_e32 v6, vcc, v4, v2
	s_addc_u32 s55, s73, s55
	v_mov_b32_e32 v13, s54
	v_addc_co_u32_e32 v7, vcc, v5, v3, vcc
	v_mov_b32_e32 v8, 2
	v_mov_b32_e32 v9, 0
	;; [unrolled: 1-line block ×3, first 2 shown]
	;;#ASMSTART
	global_store_dwordx4 v[13:14], v[6:9] off	
s_waitcnt vmcnt(0)
	;;#ASMEND
	ds_write_b128 v9, v[2:5] offset:32
.LBB27_402:
	s_or_b64 exec, exec, s[52:53]
	s_and_b64 exec, exec, s[0:1]
; %bb.403:
	v_mov_b32_e32 v2, 0
	ds_write_b64 v2, v[4:5] offset:24
.LBB27_404:
	s_or_b64 exec, exec, s[38:39]
	v_mov_b32_e32 v2, 0
	s_waitcnt lgkmcnt(0)
	s_barrier
	ds_read_b64 v[6:7], v2 offset:24
	s_waitcnt lgkmcnt(0)
	s_barrier
	ds_read_b128 v[2:5], v2 offset:32
	v_cndmask_b32_e64 v8, v58, v12, s[36:37]
	s_waitcnt lgkmcnt(0)
	v_cndmask_b32_e64 v3, v8, 0, s[0:1]
	v_add_co_u32_e32 v6, vcc, v6, v3
	s_branch .LBB27_426
.LBB27_405:
	v_mbcnt_hi_u32_b32 v6, -1, v57
	v_mov_b32_e32 v3, 0
	v_and_b32_e32 v7, 15, v6
	v_mov_b32_e32 v4, v10
	v_mov_b32_dpp v2, v10 row_shr:1 row_mask:0xf bank_mask:0xf
	v_mov_b32_dpp v8, v3 row_shr:1 row_mask:0xf bank_mask:0xf
	v_cmp_ne_u32_e32 vcc, 0, v7
	v_mov_b32_e32 v5, v11
	s_and_saveexec_b64 s[36:37], vcc
; %bb.406:
	v_add_co_u32_e32 v10, vcc, v2, v10
	v_addc_co_u32_e64 v3, s[38:39], 0, 0, vcc
	v_add_co_u32_e32 v2, vcc, 0, v10
	v_addc_co_u32_e32 v3, vcc, v8, v3, vcc
	v_mov_b32_e32 v5, v3
	v_mov_b32_e32 v4, v2
; %bb.407:
	s_or_b64 exec, exec, s[36:37]
	v_mov_b32_dpp v2, v10 row_shr:2 row_mask:0xf bank_mask:0xf
	v_mov_b32_dpp v8, v3 row_shr:2 row_mask:0xf bank_mask:0xf
	v_cmp_lt_u32_e32 vcc, 1, v7
	s_and_saveexec_b64 s[36:37], vcc
; %bb.408:
	v_add_co_u32_e32 v10, vcc, v4, v2
	v_addc_co_u32_e32 v3, vcc, 0, v5, vcc
	v_add_co_u32_e32 v2, vcc, 0, v10
	v_addc_co_u32_e32 v3, vcc, v8, v3, vcc
	v_mov_b32_e32 v5, v3
	v_mov_b32_e32 v4, v2
; %bb.409:
	s_or_b64 exec, exec, s[36:37]
	v_mov_b32_dpp v2, v10 row_shr:4 row_mask:0xf bank_mask:0xf
	v_mov_b32_dpp v8, v3 row_shr:4 row_mask:0xf bank_mask:0xf
	v_cmp_lt_u32_e32 vcc, 3, v7
	s_and_saveexec_b64 s[36:37], vcc
; %bb.410:
	v_add_co_u32_e32 v10, vcc, v4, v2
	v_addc_co_u32_e32 v3, vcc, 0, v5, vcc
	;; [unrolled: 13-line block ×3, first 2 shown]
	v_add_co_u32_e32 v2, vcc, 0, v10
	v_addc_co_u32_e32 v3, vcc, v8, v3, vcc
	v_mov_b32_e32 v5, v3
	v_mov_b32_e32 v4, v2
; %bb.413:
	s_or_b64 exec, exec, s[36:37]
	v_and_b32_e32 v8, 16, v6
	v_mov_b32_dpp v2, v10 row_bcast:15 row_mask:0xf bank_mask:0xf
	v_mov_b32_dpp v7, v3 row_bcast:15 row_mask:0xf bank_mask:0xf
	v_cmp_ne_u32_e32 vcc, 0, v8
	s_and_saveexec_b64 s[36:37], vcc
; %bb.414:
	v_add_co_u32_e32 v10, vcc, v4, v2
	v_addc_co_u32_e32 v3, vcc, 0, v5, vcc
	v_add_co_u32_e32 v2, vcc, 0, v10
	v_addc_co_u32_e32 v3, vcc, v7, v3, vcc
	v_mov_b32_e32 v5, v3
	v_mov_b32_e32 v4, v2
; %bb.415:
	s_or_b64 exec, exec, s[36:37]
	v_mov_b32_dpp v7, v10 row_bcast:31 row_mask:0xf bank_mask:0xf
	v_add_co_u32_e64 v7, s[36:37], v4, v7
	v_mov_b32_dpp v2, v3 row_bcast:31 row_mask:0xf bank_mask:0xf
	v_addc_co_u32_e64 v3, s[36:37], 0, v5, s[36:37]
	v_or_b32_e32 v9, 63, v0
	v_cmp_lt_u32_e32 vcc, 31, v6
	v_lshrrev_b32_e32 v8, 6, v0
	v_cmp_eq_u32_e64 s[36:37], v0, v9
	s_and_saveexec_b64 s[38:39], s[36:37]
	s_cbranch_execz .LBB27_417
; %bb.416:
	v_add_co_u32_e64 v11, s[36:37], 0, v7
	v_addc_co_u32_e64 v2, s[36:37], v2, v3, s[36:37]
	v_lshlrev_b32_e32 v9, 3, v8
	v_cndmask_b32_e32 v3, v5, v2, vcc
	v_cndmask_b32_e32 v2, v4, v11, vcc
	ds_write_b64 v9, v[2:3]
.LBB27_417:
	s_or_b64 exec, exec, s[38:39]
	v_cmp_gt_u32_e64 s[36:37], 4, v0
	s_waitcnt lgkmcnt(0)
	s_barrier
	s_and_saveexec_b64 s[38:39], s[36:37]
	s_cbranch_execz .LBB27_421
; %bb.418:
	v_lshlrev_b32_e32 v4, 3, v0
	ds_read_b64 v[2:3], v4
	v_and_b32_e32 v5, 3, v6
	v_cmp_ne_u32_e64 s[36:37], 0, v5
	s_waitcnt lgkmcnt(0)
	v_mov_b32_dpp v12, v2 row_shr:1 row_mask:0xf bank_mask:0xf
	v_mov_b32_dpp v11, v3 row_shr:1 row_mask:0xf bank_mask:0xf
	v_mov_b32_e32 v9, v2
	s_and_saveexec_b64 s[52:53], s[36:37]
; %bb.419:
	v_add_co_u32_e64 v9, s[36:37], v2, v12
	v_addc_co_u32_e64 v3, s[36:37], 0, v3, s[36:37]
	v_add_co_u32_e64 v2, s[36:37], 0, v9
	v_addc_co_u32_e64 v3, s[36:37], v11, v3, s[36:37]
; %bb.420:
	s_or_b64 exec, exec, s[52:53]
	v_mov_b32_dpp v9, v9 row_shr:2 row_mask:0xf bank_mask:0xf
	v_add_co_u32_e64 v9, s[36:37], v2, v9
	v_addc_co_u32_e64 v12, s[36:37], 0, v3, s[36:37]
	v_mov_b32_dpp v11, v3 row_shr:2 row_mask:0xf bank_mask:0xf
	v_add_co_u32_e64 v9, s[36:37], 0, v9
	v_addc_co_u32_e64 v11, s[36:37], v12, v11, s[36:37]
	v_cmp_lt_u32_e64 s[36:37], 1, v5
	v_cndmask_b32_e64 v3, v3, v11, s[36:37]
	v_cndmask_b32_e64 v2, v2, v9, s[36:37]
	ds_write_b64 v4, v[2:3]
.LBB27_421:
	s_or_b64 exec, exec, s[38:39]
	v_mov_b32_e32 v4, 0
	v_cmp_lt_u32_e64 s[36:37], 63, v0
	s_waitcnt lgkmcnt(0)
	s_barrier
	v_mov_b32_e32 v5, 0
	s_and_saveexec_b64 s[38:39], s[36:37]
; %bb.422:
	v_lshl_add_u32 v2, v8, 3, -8
	ds_read_b64 v[4:5], v2
; %bb.423:
	s_or_b64 exec, exec, s[38:39]
	v_cndmask_b32_e32 v2, v10, v7, vcc
	v_subrev_co_u32_e32 v3, vcc, 1, v6
	s_waitcnt lgkmcnt(0)
	v_and_b32_e32 v5, 64, v6
	v_cmp_lt_i32_e64 s[36:37], v3, v5
	v_cndmask_b32_e64 v3, v3, v6, s[36:37]
	v_add_u32_e32 v2, v2, v4
	v_lshlrev_b32_e32 v3, 2, v3
	ds_bpermute_b32 v6, v3, v2
	v_mov_b32_e32 v5, 0
	ds_read_b64 v[2:3], v5 offset:24
	s_waitcnt lgkmcnt(1)
	v_cndmask_b32_e32 v6, v6, v4, vcc
	s_and_saveexec_b64 s[36:37], s[0:1]
	s_cbranch_execz .LBB27_425
; %bb.424:
	s_add_u32 s0, s72, 0x400
	s_addc_u32 s1, s73, 0
	v_mov_b32_e32 v8, s1
	v_mov_b32_e32 v4, 2
	v_mov_b32_e32 v7, s0
	s_waitcnt lgkmcnt(0)
	;;#ASMSTART
	global_store_dwordx4 v[7:8], v[2:5] off	
s_waitcnt vmcnt(0)
	;;#ASMEND
.LBB27_425:
	s_or_b64 exec, exec, s[36:37]
	v_mov_b32_e32 v4, 0
	v_mov_b32_e32 v5, 0
.LBB27_426:
	s_waitcnt lgkmcnt(0)
	v_sub_u32_e32 v3, v6, v4
	s_barrier
	s_and_saveexec_b64 s[0:1], s[50:51]
	s_cbranch_execnz .LBB27_457
; %bb.427:
	s_or_b64 exec, exec, s[0:1]
	s_and_saveexec_b64 s[0:1], s[48:49]
	s_cbranch_execnz .LBB27_458
.LBB27_428:
	s_or_b64 exec, exec, s[0:1]
	s_and_saveexec_b64 s[0:1], s[40:41]
	s_cbranch_execnz .LBB27_459
.LBB27_429:
	s_or_b64 exec, exec, s[0:1]
	s_and_saveexec_b64 s[0:1], s[42:43]
	s_cbranch_execnz .LBB27_460
.LBB27_430:
	s_or_b64 exec, exec, s[0:1]
	s_and_saveexec_b64 s[0:1], s[44:45]
	s_cbranch_execnz .LBB27_461
.LBB27_431:
	s_or_b64 exec, exec, s[0:1]
	s_and_saveexec_b64 s[0:1], s[46:47]
.LBB27_432:
	v_cndmask_b32_e64 v6, v30, v29, s[12:13]
	v_lshlrev_b32_e32 v7, 2, v3
	v_add_u32_e32 v3, 1, v3
	ds_write_b32 v7, v6 offset:1024
.LBB27_433:
	s_or_b64 exec, exec, s[0:1]
	v_and_b32_e32 v6, 64, v56
	v_cmp_ne_u32_e32 vcc, 0, v6
	s_and_saveexec_b64 s[0:1], vcc
; %bb.434:
	v_cndmask_b32_e64 v6, v32, v31, s[14:15]
	v_lshlrev_b32_e32 v7, 2, v3
	v_add_u32_e32 v3, 1, v3
	ds_write_b32 v7, v6 offset:1024
; %bb.435:
	s_or_b64 exec, exec, s[0:1]
	v_and_b32_e32 v6, 0x80, v55
	v_cmp_ne_u32_e32 vcc, 0, v6
	s_and_saveexec_b64 s[0:1], vcc
; %bb.436:
	v_cndmask_b32_e64 v6, v34, v33, s[16:17]
	v_lshlrev_b32_e32 v7, 2, v3
	v_add_u32_e32 v3, 1, v3
	ds_write_b32 v7, v6 offset:1024
; %bb.437:
	;; [unrolled: 10-line block ×9, first 2 shown]
	s_or_b64 exec, exec, s[0:1]
	v_and_b32_e32 v6, 0x8000, v51
	v_cmp_ne_u32_e32 vcc, 0, v6
	s_and_saveexec_b64 s[0:1], vcc
; %bb.452:
	v_cndmask_b32_e64 v6, v50, v49, s[34:35]
	v_lshlrev_b32_e32 v3, 2, v3
	ds_write_b32 v3, v6 offset:1024
; %bb.453:
	s_or_b64 exec, exec, s[0:1]
	v_cmp_lt_i32_e32 vcc, v0, v2
	s_waitcnt lgkmcnt(0)
	s_barrier
	s_and_saveexec_b64 s[0:1], vcc
	s_cbranch_execz .LBB27_456
; %bb.454:
	v_mov_b32_e32 v3, 0x400
	v_lshl_or_b32 v6, v0, 2, v3
	v_lshlrev_b64 v[3:4], 2, v[4:5]
	v_lshlrev_b64 v[7:8], 2, v[0:1]
	v_mov_b32_e32 v1, s69
	v_add_co_u32_e32 v3, vcc, s68, v3
	v_addc_co_u32_e32 v1, vcc, v1, v4, vcc
	v_add_co_u32_e32 v3, vcc, v3, v7
	v_addc_co_u32_e32 v4, vcc, v1, v8, vcc
	s_mov_b64 s[0:1], 0
.LBB27_455:                             ; =>This Inner Loop Header: Depth=1
	ds_read_b32 v1, v6
	v_add_u32_e32 v0, 0x100, v0
	v_cmp_ge_i32_e32 vcc, v0, v2
	s_or_b64 s[0:1], vcc, s[0:1]
	v_add_u32_e32 v6, 0x400, v6
	s_waitcnt lgkmcnt(0)
	global_store_dword v[3:4], v1, off
	v_add_co_u32_e32 v3, vcc, 0x400, v3
	v_addc_co_u32_e32 v4, vcc, 0, v4, vcc
	s_andn2_b64 exec, exec, s[0:1]
	s_cbranch_execnz .LBB27_455
.LBB27_456:
	s_endpgm
.LBB27_457:
	v_cndmask_b32_e64 v6, v20, v19, s[2:3]
	v_lshlrev_b32_e32 v7, 2, v3
	v_add_u32_e32 v3, 1, v3
	ds_write_b32 v7, v6 offset:1024
	s_or_b64 exec, exec, s[0:1]
	s_and_saveexec_b64 s[0:1], s[48:49]
	s_cbranch_execz .LBB27_428
.LBB27_458:
	v_cndmask_b32_e64 v6, v22, v21, s[4:5]
	v_lshlrev_b32_e32 v7, 2, v3
	v_add_u32_e32 v3, 1, v3
	ds_write_b32 v7, v6 offset:1024
	s_or_b64 exec, exec, s[0:1]
	s_and_saveexec_b64 s[0:1], s[40:41]
	s_cbranch_execz .LBB27_429
.LBB27_459:
	v_cndmask_b32_e64 v6, v24, v23, s[6:7]
	v_lshlrev_b32_e32 v7, 2, v3
	v_add_u32_e32 v3, 1, v3
	ds_write_b32 v7, v6 offset:1024
	s_or_b64 exec, exec, s[0:1]
	s_and_saveexec_b64 s[0:1], s[42:43]
	s_cbranch_execz .LBB27_430
.LBB27_460:
	v_cndmask_b32_e64 v6, v26, v25, s[8:9]
	v_lshlrev_b32_e32 v7, 2, v3
	v_add_u32_e32 v3, 1, v3
	ds_write_b32 v7, v6 offset:1024
	s_or_b64 exec, exec, s[0:1]
	s_and_saveexec_b64 s[0:1], s[44:45]
	s_cbranch_execz .LBB27_431
.LBB27_461:
	v_cndmask_b32_e64 v6, v28, v27, s[10:11]
	v_lshlrev_b32_e32 v7, 2, v3
	v_add_u32_e32 v3, 1, v3
	ds_write_b32 v7, v6 offset:1024
	s_or_b64 exec, exec, s[0:1]
	s_and_saveexec_b64 s[0:1], s[46:47]
	s_cbranch_execnz .LBB27_432
	s_branch .LBB27_433
	.section	.rodata,"a",@progbits
	.p2align	6, 0x0
	.amdhsa_kernel _ZN6thrust23THRUST_200600_302600_NS11hip_rocprim16__set_operations22lookback_set_op_kernelIN7rocprim17ROCPRIM_400000_NS13kernel_configILj256ELj16ELj4294967295EEELb0ENS0_6detail15normal_iteratorINS0_10device_ptrIKiEEEESD_PiSE_lNS9_INSA_IiEEEESE_NS0_4lessIiEENS2_31serial_set_symmetric_differenceENS5_6detail19lookback_scan_stateIlLb0ELb1EEEEEvT1_T2_T3_T4_T6_T7_T8_T9_PNS0_4pairIT5_SW_EEPSW_T10_NSK_16ordered_block_idIjEE
		.amdhsa_group_segment_fixed_size 36868
		.amdhsa_private_segment_fixed_size 0
		.amdhsa_kernarg_size 344
		.amdhsa_user_sgpr_count 6
		.amdhsa_user_sgpr_private_segment_buffer 1
		.amdhsa_user_sgpr_dispatch_ptr 0
		.amdhsa_user_sgpr_queue_ptr 0
		.amdhsa_user_sgpr_kernarg_segment_ptr 1
		.amdhsa_user_sgpr_dispatch_id 0
		.amdhsa_user_sgpr_flat_scratch_init 0
		.amdhsa_user_sgpr_private_segment_size 0
		.amdhsa_uses_dynamic_stack 0
		.amdhsa_system_sgpr_private_segment_wavefront_offset 0
		.amdhsa_system_sgpr_workgroup_id_x 1
		.amdhsa_system_sgpr_workgroup_id_y 0
		.amdhsa_system_sgpr_workgroup_id_z 0
		.amdhsa_system_sgpr_workgroup_info 0
		.amdhsa_system_vgpr_workitem_id 2
		.amdhsa_next_free_vgpr 129
		.amdhsa_next_free_sgpr 98
		.amdhsa_reserve_vcc 1
		.amdhsa_reserve_flat_scratch 0
		.amdhsa_float_round_mode_32 0
		.amdhsa_float_round_mode_16_64 0
		.amdhsa_float_denorm_mode_32 3
		.amdhsa_float_denorm_mode_16_64 3
		.amdhsa_dx10_clamp 1
		.amdhsa_ieee_mode 1
		.amdhsa_fp16_overflow 0
		.amdhsa_exception_fp_ieee_invalid_op 0
		.amdhsa_exception_fp_denorm_src 0
		.amdhsa_exception_fp_ieee_div_zero 0
		.amdhsa_exception_fp_ieee_overflow 0
		.amdhsa_exception_fp_ieee_underflow 0
		.amdhsa_exception_fp_ieee_inexact 0
		.amdhsa_exception_int_div_zero 0
	.end_amdhsa_kernel
	.section	.text._ZN6thrust23THRUST_200600_302600_NS11hip_rocprim16__set_operations22lookback_set_op_kernelIN7rocprim17ROCPRIM_400000_NS13kernel_configILj256ELj16ELj4294967295EEELb0ENS0_6detail15normal_iteratorINS0_10device_ptrIKiEEEESD_PiSE_lNS9_INSA_IiEEEESE_NS0_4lessIiEENS2_31serial_set_symmetric_differenceENS5_6detail19lookback_scan_stateIlLb0ELb1EEEEEvT1_T2_T3_T4_T6_T7_T8_T9_PNS0_4pairIT5_SW_EEPSW_T10_NSK_16ordered_block_idIjEE,"axG",@progbits,_ZN6thrust23THRUST_200600_302600_NS11hip_rocprim16__set_operations22lookback_set_op_kernelIN7rocprim17ROCPRIM_400000_NS13kernel_configILj256ELj16ELj4294967295EEELb0ENS0_6detail15normal_iteratorINS0_10device_ptrIKiEEEESD_PiSE_lNS9_INSA_IiEEEESE_NS0_4lessIiEENS2_31serial_set_symmetric_differenceENS5_6detail19lookback_scan_stateIlLb0ELb1EEEEEvT1_T2_T3_T4_T6_T7_T8_T9_PNS0_4pairIT5_SW_EEPSW_T10_NSK_16ordered_block_idIjEE,comdat
.Lfunc_end27:
	.size	_ZN6thrust23THRUST_200600_302600_NS11hip_rocprim16__set_operations22lookback_set_op_kernelIN7rocprim17ROCPRIM_400000_NS13kernel_configILj256ELj16ELj4294967295EEELb0ENS0_6detail15normal_iteratorINS0_10device_ptrIKiEEEESD_PiSE_lNS9_INSA_IiEEEESE_NS0_4lessIiEENS2_31serial_set_symmetric_differenceENS5_6detail19lookback_scan_stateIlLb0ELb1EEEEEvT1_T2_T3_T4_T6_T7_T8_T9_PNS0_4pairIT5_SW_EEPSW_T10_NSK_16ordered_block_idIjEE, .Lfunc_end27-_ZN6thrust23THRUST_200600_302600_NS11hip_rocprim16__set_operations22lookback_set_op_kernelIN7rocprim17ROCPRIM_400000_NS13kernel_configILj256ELj16ELj4294967295EEELb0ENS0_6detail15normal_iteratorINS0_10device_ptrIKiEEEESD_PiSE_lNS9_INSA_IiEEEESE_NS0_4lessIiEENS2_31serial_set_symmetric_differenceENS5_6detail19lookback_scan_stateIlLb0ELb1EEEEEvT1_T2_T3_T4_T6_T7_T8_T9_PNS0_4pairIT5_SW_EEPSW_T10_NSK_16ordered_block_idIjEE
                                        ; -- End function
	.set _ZN6thrust23THRUST_200600_302600_NS11hip_rocprim16__set_operations22lookback_set_op_kernelIN7rocprim17ROCPRIM_400000_NS13kernel_configILj256ELj16ELj4294967295EEELb0ENS0_6detail15normal_iteratorINS0_10device_ptrIKiEEEESD_PiSE_lNS9_INSA_IiEEEESE_NS0_4lessIiEENS2_31serial_set_symmetric_differenceENS5_6detail19lookback_scan_stateIlLb0ELb1EEEEEvT1_T2_T3_T4_T6_T7_T8_T9_PNS0_4pairIT5_SW_EEPSW_T10_NSK_16ordered_block_idIjEE.num_vgpr, 78
	.set _ZN6thrust23THRUST_200600_302600_NS11hip_rocprim16__set_operations22lookback_set_op_kernelIN7rocprim17ROCPRIM_400000_NS13kernel_configILj256ELj16ELj4294967295EEELb0ENS0_6detail15normal_iteratorINS0_10device_ptrIKiEEEESD_PiSE_lNS9_INSA_IiEEEESE_NS0_4lessIiEENS2_31serial_set_symmetric_differenceENS5_6detail19lookback_scan_stateIlLb0ELb1EEEEEvT1_T2_T3_T4_T6_T7_T8_T9_PNS0_4pairIT5_SW_EEPSW_T10_NSK_16ordered_block_idIjEE.num_agpr, 0
	.set _ZN6thrust23THRUST_200600_302600_NS11hip_rocprim16__set_operations22lookback_set_op_kernelIN7rocprim17ROCPRIM_400000_NS13kernel_configILj256ELj16ELj4294967295EEELb0ENS0_6detail15normal_iteratorINS0_10device_ptrIKiEEEESD_PiSE_lNS9_INSA_IiEEEESE_NS0_4lessIiEENS2_31serial_set_symmetric_differenceENS5_6detail19lookback_scan_stateIlLb0ELb1EEEEEvT1_T2_T3_T4_T6_T7_T8_T9_PNS0_4pairIT5_SW_EEPSW_T10_NSK_16ordered_block_idIjEE.numbered_sgpr, 80
	.set _ZN6thrust23THRUST_200600_302600_NS11hip_rocprim16__set_operations22lookback_set_op_kernelIN7rocprim17ROCPRIM_400000_NS13kernel_configILj256ELj16ELj4294967295EEELb0ENS0_6detail15normal_iteratorINS0_10device_ptrIKiEEEESD_PiSE_lNS9_INSA_IiEEEESE_NS0_4lessIiEENS2_31serial_set_symmetric_differenceENS5_6detail19lookback_scan_stateIlLb0ELb1EEEEEvT1_T2_T3_T4_T6_T7_T8_T9_PNS0_4pairIT5_SW_EEPSW_T10_NSK_16ordered_block_idIjEE.num_named_barrier, 0
	.set _ZN6thrust23THRUST_200600_302600_NS11hip_rocprim16__set_operations22lookback_set_op_kernelIN7rocprim17ROCPRIM_400000_NS13kernel_configILj256ELj16ELj4294967295EEELb0ENS0_6detail15normal_iteratorINS0_10device_ptrIKiEEEESD_PiSE_lNS9_INSA_IiEEEESE_NS0_4lessIiEENS2_31serial_set_symmetric_differenceENS5_6detail19lookback_scan_stateIlLb0ELb1EEEEEvT1_T2_T3_T4_T6_T7_T8_T9_PNS0_4pairIT5_SW_EEPSW_T10_NSK_16ordered_block_idIjEE.private_seg_size, 0
	.set _ZN6thrust23THRUST_200600_302600_NS11hip_rocprim16__set_operations22lookback_set_op_kernelIN7rocprim17ROCPRIM_400000_NS13kernel_configILj256ELj16ELj4294967295EEELb0ENS0_6detail15normal_iteratorINS0_10device_ptrIKiEEEESD_PiSE_lNS9_INSA_IiEEEESE_NS0_4lessIiEENS2_31serial_set_symmetric_differenceENS5_6detail19lookback_scan_stateIlLb0ELb1EEEEEvT1_T2_T3_T4_T6_T7_T8_T9_PNS0_4pairIT5_SW_EEPSW_T10_NSK_16ordered_block_idIjEE.uses_vcc, 1
	.set _ZN6thrust23THRUST_200600_302600_NS11hip_rocprim16__set_operations22lookback_set_op_kernelIN7rocprim17ROCPRIM_400000_NS13kernel_configILj256ELj16ELj4294967295EEELb0ENS0_6detail15normal_iteratorINS0_10device_ptrIKiEEEESD_PiSE_lNS9_INSA_IiEEEESE_NS0_4lessIiEENS2_31serial_set_symmetric_differenceENS5_6detail19lookback_scan_stateIlLb0ELb1EEEEEvT1_T2_T3_T4_T6_T7_T8_T9_PNS0_4pairIT5_SW_EEPSW_T10_NSK_16ordered_block_idIjEE.uses_flat_scratch, 0
	.set _ZN6thrust23THRUST_200600_302600_NS11hip_rocprim16__set_operations22lookback_set_op_kernelIN7rocprim17ROCPRIM_400000_NS13kernel_configILj256ELj16ELj4294967295EEELb0ENS0_6detail15normal_iteratorINS0_10device_ptrIKiEEEESD_PiSE_lNS9_INSA_IiEEEESE_NS0_4lessIiEENS2_31serial_set_symmetric_differenceENS5_6detail19lookback_scan_stateIlLb0ELb1EEEEEvT1_T2_T3_T4_T6_T7_T8_T9_PNS0_4pairIT5_SW_EEPSW_T10_NSK_16ordered_block_idIjEE.has_dyn_sized_stack, 0
	.set _ZN6thrust23THRUST_200600_302600_NS11hip_rocprim16__set_operations22lookback_set_op_kernelIN7rocprim17ROCPRIM_400000_NS13kernel_configILj256ELj16ELj4294967295EEELb0ENS0_6detail15normal_iteratorINS0_10device_ptrIKiEEEESD_PiSE_lNS9_INSA_IiEEEESE_NS0_4lessIiEENS2_31serial_set_symmetric_differenceENS5_6detail19lookback_scan_stateIlLb0ELb1EEEEEvT1_T2_T3_T4_T6_T7_T8_T9_PNS0_4pairIT5_SW_EEPSW_T10_NSK_16ordered_block_idIjEE.has_recursion, 0
	.set _ZN6thrust23THRUST_200600_302600_NS11hip_rocprim16__set_operations22lookback_set_op_kernelIN7rocprim17ROCPRIM_400000_NS13kernel_configILj256ELj16ELj4294967295EEELb0ENS0_6detail15normal_iteratorINS0_10device_ptrIKiEEEESD_PiSE_lNS9_INSA_IiEEEESE_NS0_4lessIiEENS2_31serial_set_symmetric_differenceENS5_6detail19lookback_scan_stateIlLb0ELb1EEEEEvT1_T2_T3_T4_T6_T7_T8_T9_PNS0_4pairIT5_SW_EEPSW_T10_NSK_16ordered_block_idIjEE.has_indirect_call, 0
	.section	.AMDGPU.csdata,"",@progbits
; Kernel info:
; codeLenInByte = 19560
; TotalNumSgprs: 84
; NumVgprs: 78
; ScratchSize: 0
; MemoryBound: 0
; FloatMode: 240
; IeeeMode: 1
; LDSByteSize: 36868 bytes/workgroup (compile time only)
; SGPRBlocks: 12
; VGPRBlocks: 32
; NumSGPRsForWavesPerEU: 102
; NumVGPRsForWavesPerEU: 129
; Occupancy: 1
; WaveLimiterHint : 1
; COMPUTE_PGM_RSRC2:SCRATCH_EN: 0
; COMPUTE_PGM_RSRC2:USER_SGPR: 6
; COMPUTE_PGM_RSRC2:TRAP_HANDLER: 0
; COMPUTE_PGM_RSRC2:TGID_X_EN: 1
; COMPUTE_PGM_RSRC2:TGID_Y_EN: 0
; COMPUTE_PGM_RSRC2:TGID_Z_EN: 0
; COMPUTE_PGM_RSRC2:TIDIG_COMP_CNT: 2
	.section	.text._ZN6thrust23THRUST_200600_302600_NS11hip_rocprim14__parallel_for6kernelILj256EZNS1_16__set_operations9doit_stepILb0ENS0_6detail15normal_iteratorINS0_10device_ptrIKiEEEESB_PiSC_lNS0_16discard_iteratorINS0_11use_defaultEEESC_NS0_4lessIiEENS4_23serial_set_intersectionEEE10hipError_tPvRmT0_T1_T2_T3_T4_SQ_T5_T6_PSQ_T7_T8_P12ihipStream_tbEUllE_jLj1EEEvSM_SN_SN_,"axG",@progbits,_ZN6thrust23THRUST_200600_302600_NS11hip_rocprim14__parallel_for6kernelILj256EZNS1_16__set_operations9doit_stepILb0ENS0_6detail15normal_iteratorINS0_10device_ptrIKiEEEESB_PiSC_lNS0_16discard_iteratorINS0_11use_defaultEEESC_NS0_4lessIiEENS4_23serial_set_intersectionEEE10hipError_tPvRmT0_T1_T2_T3_T4_SQ_T5_T6_PSQ_T7_T8_P12ihipStream_tbEUllE_jLj1EEEvSM_SN_SN_,comdat
	.protected	_ZN6thrust23THRUST_200600_302600_NS11hip_rocprim14__parallel_for6kernelILj256EZNS1_16__set_operations9doit_stepILb0ENS0_6detail15normal_iteratorINS0_10device_ptrIKiEEEESB_PiSC_lNS0_16discard_iteratorINS0_11use_defaultEEESC_NS0_4lessIiEENS4_23serial_set_intersectionEEE10hipError_tPvRmT0_T1_T2_T3_T4_SQ_T5_T6_PSQ_T7_T8_P12ihipStream_tbEUllE_jLj1EEEvSM_SN_SN_ ; -- Begin function _ZN6thrust23THRUST_200600_302600_NS11hip_rocprim14__parallel_for6kernelILj256EZNS1_16__set_operations9doit_stepILb0ENS0_6detail15normal_iteratorINS0_10device_ptrIKiEEEESB_PiSC_lNS0_16discard_iteratorINS0_11use_defaultEEESC_NS0_4lessIiEENS4_23serial_set_intersectionEEE10hipError_tPvRmT0_T1_T2_T3_T4_SQ_T5_T6_PSQ_T7_T8_P12ihipStream_tbEUllE_jLj1EEEvSM_SN_SN_
	.globl	_ZN6thrust23THRUST_200600_302600_NS11hip_rocprim14__parallel_for6kernelILj256EZNS1_16__set_operations9doit_stepILb0ENS0_6detail15normal_iteratorINS0_10device_ptrIKiEEEESB_PiSC_lNS0_16discard_iteratorINS0_11use_defaultEEESC_NS0_4lessIiEENS4_23serial_set_intersectionEEE10hipError_tPvRmT0_T1_T2_T3_T4_SQ_T5_T6_PSQ_T7_T8_P12ihipStream_tbEUllE_jLj1EEEvSM_SN_SN_
	.p2align	8
	.type	_ZN6thrust23THRUST_200600_302600_NS11hip_rocprim14__parallel_for6kernelILj256EZNS1_16__set_operations9doit_stepILb0ENS0_6detail15normal_iteratorINS0_10device_ptrIKiEEEESB_PiSC_lNS0_16discard_iteratorINS0_11use_defaultEEESC_NS0_4lessIiEENS4_23serial_set_intersectionEEE10hipError_tPvRmT0_T1_T2_T3_T4_SQ_T5_T6_PSQ_T7_T8_P12ihipStream_tbEUllE_jLj1EEEvSM_SN_SN_,@function
_ZN6thrust23THRUST_200600_302600_NS11hip_rocprim14__parallel_for6kernelILj256EZNS1_16__set_operations9doit_stepILb0ENS0_6detail15normal_iteratorINS0_10device_ptrIKiEEEESB_PiSC_lNS0_16discard_iteratorINS0_11use_defaultEEESC_NS0_4lessIiEENS4_23serial_set_intersectionEEE10hipError_tPvRmT0_T1_T2_T3_T4_SQ_T5_T6_PSQ_T7_T8_P12ihipStream_tbEUllE_jLj1EEEvSM_SN_SN_: ; @_ZN6thrust23THRUST_200600_302600_NS11hip_rocprim14__parallel_for6kernelILj256EZNS1_16__set_operations9doit_stepILb0ENS0_6detail15normal_iteratorINS0_10device_ptrIKiEEEESB_PiSC_lNS0_16discard_iteratorINS0_11use_defaultEEESC_NS0_4lessIiEENS4_23serial_set_intersectionEEE10hipError_tPvRmT0_T1_T2_T3_T4_SQ_T5_T6_PSQ_T7_T8_P12ihipStream_tbEUllE_jLj1EEEvSM_SN_SN_
; %bb.0:
	s_load_dwordx2 s[0:1], s[4:5], 0x30
	s_load_dwordx2 s[2:3], s[4:5], 0x20
	s_load_dwordx8 s[8:15], s[4:5], 0x0
	s_lshl_b32 s4, s6, 8
	s_waitcnt lgkmcnt(0)
	s_add_i32 s18, s1, s4
	s_sub_i32 s4, s0, s18
	s_cmpk_gt_u32 s4, 0xff
	s_mov_b64 s[0:1], -1
	s_cbranch_scc0 .LBB28_3
; %bb.1:
	s_andn2_b64 vcc, exec, s[0:1]
	s_cbranch_vccz .LBB28_40
.LBB28_2:
	s_endpgm
.LBB28_3:
	v_cmp_gt_u32_e32 vcc, s4, v0
	s_and_saveexec_b64 s[4:5], vcc
	s_cbranch_execz .LBB28_39
; %bb.4:
	v_add_u32_e32 v3, s18, v0
	s_movk_i32 s0, 0xfff
	v_mad_u64_u32 v[1:2], s[0:1], v3, s0, 0
	s_add_u32 s0, s10, s8
	s_addc_u32 s1, s11, s9
	v_cmp_lt_i64_e32 vcc, s[0:1], v[1:2]
	v_mov_b32_e32 v5, s1
	v_cndmask_b32_e32 v6, v2, v5, vcc
	v_mov_b32_e32 v2, s0
	v_cndmask_b32_e32 v5, v1, v2, vcc
	v_mov_b32_e32 v2, s11
	v_subrev_co_u32_e32 v1, vcc, s10, v5
	v_subb_co_u32_e32 v2, vcc, v6, v2, vcc
	v_cmp_lt_i64_e32 vcc, 0, v[1:2]
	v_mov_b32_e32 v7, s9
	v_cndmask_b32_e32 v2, 0, v2, vcc
	v_cndmask_b32_e32 v1, 0, v1, vcc
	v_cmp_lt_i64_e32 vcc, s[8:9], v[5:6]
	v_mov_b32_e32 v4, 0
	v_cndmask_b32_e32 v8, v6, v7, vcc
	v_mov_b32_e32 v7, s8
	v_cndmask_b32_e32 v7, v5, v7, vcc
	v_cmp_lt_i64_e32 vcc, v[1:2], v[7:8]
	s_mov_b64 s[6:7], 0
	s_and_saveexec_b64 s[0:1], vcc
	s_cbranch_execz .LBB28_8
; %bb.5:
	v_lshlrev_b64 v[9:10], 2, v[5:6]
	v_mov_b32_e32 v11, s3
	v_add_co_u32_e32 v9, vcc, s2, v9
	v_addc_co_u32_e32 v10, vcc, v11, v10, vcc
.LBB28_6:                               ; =>This Inner Loop Header: Depth=1
	v_add_co_u32_e32 v11, vcc, v7, v1
	v_addc_co_u32_e32 v12, vcc, v8, v2, vcc
	v_lshrrev_b64 v[11:12], 1, v[11:12]
	v_mov_b32_e32 v16, s15
	v_lshlrev_b64 v[13:14], 2, v[11:12]
	v_add_co_u32_e32 v15, vcc, s14, v13
	v_addc_co_u32_e32 v16, vcc, v16, v14, vcc
	v_xor_b32_e32 v13, -4, v13
	v_xor_b32_e32 v14, -1, v14
	v_add_co_u32_e32 v13, vcc, v9, v13
	v_addc_co_u32_e32 v14, vcc, v10, v14, vcc
	global_load_dword v15, v[15:16], off
	s_nop 0
	global_load_dword v13, v[13:14], off
	v_add_co_u32_e32 v14, vcc, 1, v11
	v_addc_co_u32_e32 v16, vcc, 0, v12, vcc
	s_waitcnt vmcnt(0)
	v_cmp_lt_i32_e32 vcc, v13, v15
	v_cndmask_b32_e32 v8, v8, v12, vcc
	v_cndmask_b32_e32 v7, v7, v11, vcc
	;; [unrolled: 1-line block ×4, first 2 shown]
	v_cmp_ge_i64_e32 vcc, v[1:2], v[7:8]
	s_or_b64 s[6:7], vcc, s[6:7]
	s_andn2_b64 exec, exec, s[6:7]
	s_cbranch_execnz .LBB28_6
; %bb.7:
	s_or_b64 exec, exec, s[6:7]
.LBB28_8:
	s_or_b64 exec, exec, s[0:1]
	v_sub_co_u32_e32 v11, vcc, v5, v1
	v_subb_co_u32_e32 v12, vcc, v6, v2, vcc
	v_cmp_gt_i64_e32 vcc, s[10:11], v[11:12]
	v_mov_b32_e32 v9, 0
	v_mov_b32_e32 v10, 0
	s_and_saveexec_b64 s[6:7], vcc
	s_cbranch_execz .LBB28_38
; %bb.9:
	v_lshlrev_b64 v[7:8], 2, v[11:12]
	v_mov_b32_e32 v10, s3
	v_add_co_u32_e32 v9, vcc, s2, v7
	v_addc_co_u32_e32 v10, vcc, v10, v8, vcc
	global_load_dword v19, v[9:10], off
	v_mov_b32_e32 v7, 0
	v_cmp_lt_i64_e32 vcc, 0, v[1:2]
	v_mov_b32_e32 v13, 0
	v_mov_b32_e32 v8, 0
	;; [unrolled: 1-line block ×3, first 2 shown]
	s_and_saveexec_b64 s[0:1], vcc
	s_cbranch_execnz .LBB28_14
; %bb.10:
	s_or_b64 exec, exec, s[0:1]
	v_cmp_lt_u64_e32 vcc, v[7:8], v[13:14]
	s_and_saveexec_b64 s[0:1], vcc
	s_cbranch_execnz .LBB28_15
.LBB28_11:
	s_or_b64 exec, exec, s[0:1]
	v_cmp_lt_u64_e32 vcc, v[7:8], v[13:14]
	s_and_saveexec_b64 s[0:1], vcc
	s_cbranch_execnz .LBB28_16
.LBB28_12:
	s_or_b64 exec, exec, s[0:1]
	v_cmp_lt_u64_e32 vcc, v[7:8], v[13:14]
	s_and_saveexec_b64 s[0:1], vcc
	s_cbranch_execnz .LBB28_17
.LBB28_13:
	s_or_b64 exec, exec, s[0:1]
	v_cmp_lt_u64_e32 vcc, v[7:8], v[13:14]
	s_and_saveexec_b64 s[0:1], vcc
	s_cbranch_execnz .LBB28_18
	s_branch .LBB28_21
.LBB28_14:
	s_movk_i32 s19, 0x1ff
	v_mad_u64_u32 v[7:8], s[16:17], v1, s19, 0
	v_mov_b32_e32 v15, s15
	v_mad_u64_u32 v[13:14], s[16:17], v2, s19, v[8:9]
	v_mov_b32_e32 v8, v13
	v_lshrrev_b64 v[13:14], 9, v[7:8]
	v_lshlrev_b64 v[7:8], 2, v[13:14]
	v_add_co_u32_e32 v7, vcc, s14, v7
	v_addc_co_u32_e32 v8, vcc, v15, v8, vcc
	global_load_dword v7, v[7:8], off
	v_add_co_u32_e32 v15, vcc, 1, v13
	v_addc_co_u32_e32 v8, vcc, 0, v14, vcc
	s_waitcnt vmcnt(0)
	v_cmp_lt_i32_e32 vcc, v7, v19
	v_cndmask_b32_e32 v8, 0, v8, vcc
	v_cndmask_b32_e32 v7, 0, v15, vcc
	;; [unrolled: 1-line block ×4, first 2 shown]
	s_or_b64 exec, exec, s[0:1]
	v_cmp_lt_u64_e32 vcc, v[7:8], v[13:14]
	s_and_saveexec_b64 s[0:1], vcc
	s_cbranch_execz .LBB28_11
.LBB28_15:
	s_movk_i32 s19, 0x7f
	v_mad_u64_u32 v[15:16], s[16:17], v13, s19, v[7:8]
	v_mov_b32_e32 v20, s15
	v_mad_u64_u32 v[16:17], s[16:17], v14, s19, v[16:17]
	v_lshrrev_b64 v[15:16], 7, v[15:16]
	v_lshlrev_b64 v[17:18], 2, v[15:16]
	v_add_co_u32_e32 v17, vcc, s14, v17
	v_addc_co_u32_e32 v18, vcc, v20, v18, vcc
	global_load_dword v17, v[17:18], off
	v_add_co_u32_e32 v18, vcc, 1, v15
	v_addc_co_u32_e32 v20, vcc, 0, v16, vcc
	s_waitcnt vmcnt(0)
	v_cmp_lt_i32_e32 vcc, v17, v19
	v_cndmask_b32_e32 v8, v8, v20, vcc
	v_cndmask_b32_e32 v7, v7, v18, vcc
	;; [unrolled: 1-line block ×4, first 2 shown]
	s_or_b64 exec, exec, s[0:1]
	v_cmp_lt_u64_e32 vcc, v[7:8], v[13:14]
	s_and_saveexec_b64 s[0:1], vcc
	s_cbranch_execz .LBB28_12
.LBB28_16:
	v_mad_u64_u32 v[15:16], s[16:17], v13, 31, v[7:8]
	v_mov_b32_e32 v20, s15
	v_mad_u64_u32 v[16:17], s[16:17], v14, 31, v[16:17]
	v_lshrrev_b64 v[15:16], 5, v[15:16]
	v_lshlrev_b64 v[17:18], 2, v[15:16]
	v_add_co_u32_e32 v17, vcc, s14, v17
	v_addc_co_u32_e32 v18, vcc, v20, v18, vcc
	global_load_dword v17, v[17:18], off
	v_add_co_u32_e32 v18, vcc, 1, v15
	v_addc_co_u32_e32 v20, vcc, 0, v16, vcc
	s_waitcnt vmcnt(0)
	v_cmp_lt_i32_e32 vcc, v17, v19
	v_cndmask_b32_e32 v8, v8, v20, vcc
	v_cndmask_b32_e32 v7, v7, v18, vcc
	;; [unrolled: 1-line block ×4, first 2 shown]
	s_or_b64 exec, exec, s[0:1]
	v_cmp_lt_u64_e32 vcc, v[7:8], v[13:14]
	s_and_saveexec_b64 s[0:1], vcc
	s_cbranch_execz .LBB28_13
.LBB28_17:
	v_mad_u64_u32 v[15:16], s[16:17], v13, 15, v[7:8]
	v_mov_b32_e32 v20, s15
	v_mad_u64_u32 v[16:17], s[16:17], v14, 15, v[16:17]
	v_lshrrev_b64 v[15:16], 4, v[15:16]
	v_lshlrev_b64 v[17:18], 2, v[15:16]
	v_add_co_u32_e32 v17, vcc, s14, v17
	v_addc_co_u32_e32 v18, vcc, v20, v18, vcc
	global_load_dword v17, v[17:18], off
	v_add_co_u32_e32 v18, vcc, 1, v15
	v_addc_co_u32_e32 v20, vcc, 0, v16, vcc
	s_waitcnt vmcnt(0)
	v_cmp_lt_i32_e32 vcc, v17, v19
	v_cndmask_b32_e32 v8, v8, v20, vcc
	v_cndmask_b32_e32 v7, v7, v18, vcc
	;; [unrolled: 1-line block ×4, first 2 shown]
	s_or_b64 exec, exec, s[0:1]
	v_cmp_lt_u64_e32 vcc, v[7:8], v[13:14]
	s_and_saveexec_b64 s[0:1], vcc
	s_cbranch_execz .LBB28_21
.LBB28_18:
	s_mov_b64 s[16:17], 0
	v_mov_b32_e32 v15, s15
.LBB28_19:                              ; =>This Inner Loop Header: Depth=1
	v_add_co_u32_e32 v16, vcc, v7, v13
	v_addc_co_u32_e32 v17, vcc, v8, v14, vcc
	v_lshrrev_b64 v[16:17], 1, v[16:17]
	v_lshlrev_b64 v[20:21], 2, v[16:17]
	v_add_co_u32_e32 v20, vcc, s14, v20
	v_addc_co_u32_e32 v21, vcc, v15, v21, vcc
	global_load_dword v18, v[20:21], off
	v_add_co_u32_e32 v20, vcc, 1, v16
	v_addc_co_u32_e32 v21, vcc, 0, v17, vcc
	s_waitcnt vmcnt(0)
	v_cmp_lt_i32_e32 vcc, v18, v19
	v_cndmask_b32_e32 v8, v8, v21, vcc
	v_cndmask_b32_e32 v7, v7, v20, vcc
	;; [unrolled: 1-line block ×4, first 2 shown]
	v_cmp_ge_i64_e32 vcc, v[7:8], v[13:14]
	s_or_b64 s[16:17], vcc, s[16:17]
	s_andn2_b64 exec, exec, s[16:17]
	s_cbranch_execnz .LBB28_19
; %bb.20:
	s_or_b64 exec, exec, s[16:17]
.LBB28_21:
	s_or_b64 exec, exec, s[0:1]
	v_mov_b32_e32 v13, 0
	v_cmp_lt_i64_e32 vcc, 0, v[11:12]
	v_mov_b32_e32 v16, v12
	v_mov_b32_e32 v14, 0
	;; [unrolled: 1-line block ×3, first 2 shown]
	s_and_saveexec_b64 s[0:1], vcc
	s_cbranch_execnz .LBB28_26
; %bb.22:
	s_or_b64 exec, exec, s[0:1]
	v_cmp_lt_i64_e32 vcc, v[13:14], v[15:16]
	s_and_saveexec_b64 s[0:1], vcc
	s_cbranch_execnz .LBB28_27
.LBB28_23:
	s_or_b64 exec, exec, s[0:1]
	v_cmp_lt_i64_e32 vcc, v[13:14], v[15:16]
	s_and_saveexec_b64 s[0:1], vcc
	s_cbranch_execnz .LBB28_28
.LBB28_24:
	s_or_b64 exec, exec, s[0:1]
	v_cmp_lt_i64_e32 vcc, v[13:14], v[15:16]
	s_and_saveexec_b64 s[0:1], vcc
	s_cbranch_execnz .LBB28_29
.LBB28_25:
	s_or_b64 exec, exec, s[0:1]
	v_cmp_lt_i64_e32 vcc, v[13:14], v[15:16]
	s_and_saveexec_b64 s[0:1], vcc
	s_cbranch_execnz .LBB28_30
	s_branch .LBB28_33
.LBB28_26:
	s_movk_i32 s19, 0x1ff
	v_mad_u64_u32 v[13:14], s[16:17], v11, s19, 0
	v_mov_b32_e32 v17, s3
	v_mad_u64_u32 v[14:15], s[16:17], v12, s19, v[14:15]
	v_lshrrev_b64 v[15:16], 9, v[13:14]
	v_lshlrev_b64 v[13:14], 2, v[15:16]
	v_add_co_u32_e32 v13, vcc, s2, v13
	v_addc_co_u32_e32 v14, vcc, v17, v14, vcc
	global_load_dword v13, v[13:14], off
	v_add_co_u32_e32 v17, vcc, 1, v15
	v_addc_co_u32_e32 v14, vcc, 0, v16, vcc
	s_waitcnt vmcnt(0)
	v_cmp_lt_i32_e32 vcc, v13, v19
	v_cndmask_b32_e32 v14, 0, v14, vcc
	v_cndmask_b32_e32 v13, 0, v17, vcc
	v_cndmask_b32_e32 v16, v16, v12, vcc
	v_cndmask_b32_e32 v15, v15, v11, vcc
	s_or_b64 exec, exec, s[0:1]
	v_cmp_lt_i64_e32 vcc, v[13:14], v[15:16]
	s_and_saveexec_b64 s[0:1], vcc
	s_cbranch_execz .LBB28_23
.LBB28_27:
	s_movk_i32 s19, 0x7f
	v_mad_u64_u32 v[17:18], s[16:17], v15, s19, v[13:14]
	v_mov_b32_e32 v22, s3
	s_waitcnt vmcnt(0)
	v_mad_u64_u32 v[20:21], s[16:17], v16, s19, v[18:19]
	v_mov_b32_e32 v18, v20
	v_lshrrev_b64 v[17:18], 7, v[17:18]
	v_lshlrev_b64 v[20:21], 2, v[17:18]
	v_add_co_u32_e32 v20, vcc, s2, v20
	v_addc_co_u32_e32 v21, vcc, v22, v21, vcc
	global_load_dword v20, v[20:21], off
	v_add_co_u32_e32 v21, vcc, 1, v17
	v_addc_co_u32_e32 v22, vcc, 0, v18, vcc
	s_waitcnt vmcnt(0)
	v_cmp_lt_i32_e32 vcc, v20, v19
	v_cndmask_b32_e32 v14, v14, v22, vcc
	v_cndmask_b32_e32 v13, v13, v21, vcc
	;; [unrolled: 1-line block ×4, first 2 shown]
	s_or_b64 exec, exec, s[0:1]
	v_cmp_lt_i64_e32 vcc, v[13:14], v[15:16]
	s_and_saveexec_b64 s[0:1], vcc
	s_cbranch_execz .LBB28_24
.LBB28_28:
	v_mad_u64_u32 v[17:18], s[16:17], v15, 31, v[13:14]
	v_mov_b32_e32 v22, s3
	s_waitcnt vmcnt(0)
	v_mad_u64_u32 v[20:21], s[16:17], v16, 31, v[18:19]
	v_mov_b32_e32 v18, v20
	v_lshrrev_b64 v[17:18], 5, v[17:18]
	v_lshlrev_b64 v[20:21], 2, v[17:18]
	v_add_co_u32_e32 v20, vcc, s2, v20
	v_addc_co_u32_e32 v21, vcc, v22, v21, vcc
	global_load_dword v20, v[20:21], off
	v_add_co_u32_e32 v21, vcc, 1, v17
	v_addc_co_u32_e32 v22, vcc, 0, v18, vcc
	s_waitcnt vmcnt(0)
	v_cmp_lt_i32_e32 vcc, v20, v19
	v_cndmask_b32_e32 v14, v14, v22, vcc
	v_cndmask_b32_e32 v13, v13, v21, vcc
	;; [unrolled: 1-line block ×4, first 2 shown]
	s_or_b64 exec, exec, s[0:1]
	v_cmp_lt_i64_e32 vcc, v[13:14], v[15:16]
	s_and_saveexec_b64 s[0:1], vcc
	s_cbranch_execz .LBB28_25
.LBB28_29:
	v_mad_u64_u32 v[17:18], s[16:17], v15, 15, v[13:14]
	v_mov_b32_e32 v22, s3
	s_waitcnt vmcnt(0)
	v_mad_u64_u32 v[20:21], s[16:17], v16, 15, v[18:19]
	v_mov_b32_e32 v18, v20
	v_lshrrev_b64 v[17:18], 4, v[17:18]
	v_lshlrev_b64 v[20:21], 2, v[17:18]
	v_add_co_u32_e32 v20, vcc, s2, v20
	v_addc_co_u32_e32 v21, vcc, v22, v21, vcc
	global_load_dword v20, v[20:21], off
	v_add_co_u32_e32 v21, vcc, 1, v17
	v_addc_co_u32_e32 v22, vcc, 0, v18, vcc
	s_waitcnt vmcnt(0)
	v_cmp_lt_i32_e32 vcc, v20, v19
	v_cndmask_b32_e32 v14, v14, v22, vcc
	v_cndmask_b32_e32 v13, v13, v21, vcc
	;; [unrolled: 1-line block ×4, first 2 shown]
	s_or_b64 exec, exec, s[0:1]
	v_cmp_lt_i64_e32 vcc, v[13:14], v[15:16]
	s_and_saveexec_b64 s[0:1], vcc
	s_cbranch_execz .LBB28_33
.LBB28_30:
	s_mov_b64 s[16:17], 0
	v_mov_b32_e32 v17, s3
.LBB28_31:                              ; =>This Inner Loop Header: Depth=1
	v_add_co_u32_e32 v20, vcc, v13, v15
	v_addc_co_u32_e32 v21, vcc, v14, v16, vcc
	v_lshrrev_b64 v[20:21], 1, v[20:21]
	v_lshlrev_b64 v[22:23], 2, v[20:21]
	v_add_co_u32_e32 v22, vcc, s2, v22
	v_addc_co_u32_e32 v23, vcc, v17, v23, vcc
	global_load_dword v18, v[22:23], off
	v_add_co_u32_e32 v22, vcc, 1, v20
	v_addc_co_u32_e32 v23, vcc, 0, v21, vcc
	s_waitcnt vmcnt(0)
	v_cmp_lt_i32_e32 vcc, v18, v19
	v_cndmask_b32_e32 v14, v14, v23, vcc
	v_cndmask_b32_e32 v13, v13, v22, vcc
	v_cndmask_b32_e32 v16, v21, v16, vcc
	v_cndmask_b32_e32 v15, v20, v15, vcc
	v_cmp_ge_i64_e32 vcc, v[13:14], v[15:16]
	s_or_b64 s[16:17], vcc, s[16:17]
	s_andn2_b64 exec, exec, s[16:17]
	s_cbranch_execnz .LBB28_31
; %bb.32:
	s_or_b64 exec, exec, s[16:17]
.LBB28_33:
	s_or_b64 exec, exec, s[0:1]
	v_sub_co_u32_e32 v1, vcc, v1, v7
	v_subb_co_u32_e32 v2, vcc, v2, v8, vcc
	v_sub_co_u32_e32 v17, vcc, v11, v13
	v_subb_co_u32_e32 v18, vcc, v12, v14, vcc
	v_add_co_u32_e32 v15, vcc, v17, v1
	v_addc_co_u32_e32 v16, vcc, v18, v2, vcc
	v_ashrrev_i64 v[1:2], 1, v[15:16]
	v_mov_b32_e32 v20, s11
	v_cmp_gt_i64_e32 vcc, v[1:2], v[17:18]
	v_cndmask_b32_e32 v1, v17, v1, vcc
	v_cndmask_b32_e32 v2, v18, v2, vcc
	v_add_co_u32_e32 v13, vcc, v13, v1
	v_addc_co_u32_e32 v14, vcc, v14, v2, vcc
	v_add_co_u32_e32 v13, vcc, 1, v13
	v_addc_co_u32_e32 v14, vcc, 0, v14, vcc
	v_cmp_gt_i64_e32 vcc, s[10:11], v[13:14]
	v_cndmask_b32_e32 v14, v20, v14, vcc
	v_mov_b32_e32 v20, s10
	v_cndmask_b32_e32 v13, v20, v13, vcc
	v_sub_co_u32_e32 v13, vcc, v13, v11
	v_subb_co_u32_e32 v14, vcc, v14, v12, vcc
	v_mov_b32_e32 v11, 0
	v_cmp_lt_i64_e32 vcc, 0, v[13:14]
	v_mov_b32_e32 v12, 0
	s_and_saveexec_b64 s[0:1], vcc
	s_cbranch_execz .LBB28_37
; %bb.34:
	v_mov_b32_e32 v11, 0
	v_mov_b32_e32 v12, 0
	s_mov_b64 s[16:17], 0
.LBB28_35:                              ; =>This Inner Loop Header: Depth=1
	v_add_co_u32_e32 v20, vcc, v11, v13
	v_addc_co_u32_e32 v21, vcc, v12, v14, vcc
	v_lshrrev_b64 v[20:21], 1, v[20:21]
	v_lshlrev_b64 v[22:23], 2, v[20:21]
	v_add_co_u32_e32 v22, vcc, v9, v22
	v_addc_co_u32_e32 v23, vcc, v10, v23, vcc
	global_load_dword v22, v[22:23], off
	v_add_co_u32_e32 v23, vcc, 1, v20
	v_addc_co_u32_e32 v24, vcc, 0, v21, vcc
	s_waitcnt vmcnt(0)
	v_cmp_lt_i32_e32 vcc, v19, v22
	v_cndmask_b32_e32 v12, v24, v12, vcc
	v_cndmask_b32_e32 v11, v23, v11, vcc
	;; [unrolled: 1-line block ×4, first 2 shown]
	v_cmp_ge_i64_e32 vcc, v[11:12], v[13:14]
	s_or_b64 s[16:17], vcc, s[16:17]
	s_andn2_b64 exec, exec, s[16:17]
	s_cbranch_execnz .LBB28_35
; %bb.36:
	s_or_b64 exec, exec, s[16:17]
	v_ashrrev_i32_e32 v12, 31, v11
.LBB28_37:
	s_or_b64 exec, exec, s[0:1]
	v_add_co_u32_e32 v9, vcc, v11, v17
	v_addc_co_u32_e32 v10, vcc, v12, v18, vcc
	v_cmp_lt_i64_e32 vcc, v[9:10], v[1:2]
	v_cmp_lt_i64_e64 s[0:1], v[1:2], v[9:10]
	v_cndmask_b32_e32 v13, v1, v9, vcc
	v_cndmask_b32_e32 v14, v2, v10, vcc
	v_sub_co_u32_e32 v11, vcc, v15, v13
	v_subb_co_u32_e32 v12, vcc, v16, v14, vcc
	v_add_co_u32_e32 v13, vcc, 1, v13
	v_addc_co_u32_e32 v14, vcc, 0, v14, vcc
	v_cmp_eq_u64_e32 vcc, v[11:12], v[13:14]
	s_and_b64 s[0:1], vcc, s[0:1]
	v_cndmask_b32_e64 v9, 0, 1, s[0:1]
	s_mov_b32 s0, 0
	v_add_co_u32_e32 v1, vcc, v11, v7
	v_mov_b32_e32 v10, s0
	v_addc_co_u32_e32 v2, vcc, v12, v8, vcc
.LBB28_38:
	s_or_b64 exec, exec, s[6:7]
	v_lshlrev_b64 v[3:4], 4, v[3:4]
	v_mov_b32_e32 v8, s13
	v_add_co_u32_e32 v7, vcc, s12, v3
	v_addc_co_u32_e32 v8, vcc, v8, v4, vcc
	v_add_co_u32_e32 v3, vcc, v9, v5
	v_addc_co_u32_e32 v4, vcc, v10, v6, vcc
	v_sub_co_u32_e32 v3, vcc, v3, v1
	v_subb_co_u32_e32 v4, vcc, v4, v2, vcc
	global_store_dwordx4 v[7:8], v[1:4], off
.LBB28_39:
	s_or_b64 exec, exec, s[4:5]
	s_cbranch_execnz .LBB28_2
.LBB28_40:
	v_add_u32_e32 v2, s18, v0
	s_movk_i32 s0, 0xfff
	v_mad_u64_u32 v[0:1], s[0:1], v2, s0, 0
	s_add_u32 s0, s10, s8
	s_addc_u32 s1, s11, s9
	v_cmp_lt_i64_e32 vcc, s[0:1], v[0:1]
	v_mov_b32_e32 v4, s1
	v_cndmask_b32_e32 v5, v1, v4, vcc
	v_mov_b32_e32 v1, s0
	v_cndmask_b32_e32 v4, v0, v1, vcc
	v_mov_b32_e32 v1, s11
	v_subrev_co_u32_e32 v0, vcc, s10, v4
	v_subb_co_u32_e32 v1, vcc, v5, v1, vcc
	v_cmp_lt_i64_e32 vcc, 0, v[0:1]
	v_mov_b32_e32 v6, s9
	v_cndmask_b32_e32 v1, 0, v1, vcc
	v_cndmask_b32_e32 v0, 0, v0, vcc
	v_cmp_lt_i64_e32 vcc, s[8:9], v[4:5]
	v_mov_b32_e32 v3, 0
	v_cndmask_b32_e32 v7, v5, v6, vcc
	v_mov_b32_e32 v6, s8
	v_cndmask_b32_e32 v6, v4, v6, vcc
	v_cmp_lt_i64_e32 vcc, v[0:1], v[6:7]
	s_mov_b64 s[4:5], 0
	s_and_saveexec_b64 s[0:1], vcc
	s_cbranch_execz .LBB28_44
; %bb.41:
	v_lshlrev_b64 v[8:9], 2, v[4:5]
	v_mov_b32_e32 v10, s3
	v_add_co_u32_e32 v8, vcc, s2, v8
	v_addc_co_u32_e32 v9, vcc, v10, v9, vcc
.LBB28_42:                              ; =>This Inner Loop Header: Depth=1
	v_add_co_u32_e32 v10, vcc, v6, v0
	v_addc_co_u32_e32 v11, vcc, v7, v1, vcc
	v_lshrrev_b64 v[10:11], 1, v[10:11]
	v_mov_b32_e32 v15, s15
	v_lshlrev_b64 v[12:13], 2, v[10:11]
	v_add_co_u32_e32 v14, vcc, s14, v12
	v_addc_co_u32_e32 v15, vcc, v15, v13, vcc
	v_xor_b32_e32 v12, -4, v12
	v_xor_b32_e32 v13, -1, v13
	v_add_co_u32_e32 v12, vcc, v8, v12
	v_addc_co_u32_e32 v13, vcc, v9, v13, vcc
	global_load_dword v14, v[14:15], off
	s_nop 0
	global_load_dword v12, v[12:13], off
	v_add_co_u32_e32 v13, vcc, 1, v10
	v_addc_co_u32_e32 v15, vcc, 0, v11, vcc
	s_waitcnt vmcnt(0)
	v_cmp_lt_i32_e32 vcc, v12, v14
	v_cndmask_b32_e32 v7, v7, v11, vcc
	v_cndmask_b32_e32 v6, v6, v10, vcc
	;; [unrolled: 1-line block ×4, first 2 shown]
	v_cmp_ge_i64_e32 vcc, v[0:1], v[6:7]
	s_or_b64 s[4:5], vcc, s[4:5]
	s_andn2_b64 exec, exec, s[4:5]
	s_cbranch_execnz .LBB28_42
; %bb.43:
	s_or_b64 exec, exec, s[4:5]
.LBB28_44:
	s_or_b64 exec, exec, s[0:1]
	v_sub_co_u32_e32 v10, vcc, v4, v0
	v_subb_co_u32_e32 v11, vcc, v5, v1, vcc
	v_cmp_gt_i64_e32 vcc, s[10:11], v[10:11]
	v_mov_b32_e32 v8, 0
	v_mov_b32_e32 v9, 0
	s_and_saveexec_b64 s[4:5], vcc
	s_cbranch_execz .LBB28_74
; %bb.45:
	v_lshlrev_b64 v[6:7], 2, v[10:11]
	v_mov_b32_e32 v9, s3
	v_add_co_u32_e32 v8, vcc, s2, v6
	v_addc_co_u32_e32 v9, vcc, v9, v7, vcc
	global_load_dword v18, v[8:9], off
	v_mov_b32_e32 v6, 0
	v_cmp_lt_i64_e32 vcc, 0, v[0:1]
	v_mov_b32_e32 v12, 0
	v_mov_b32_e32 v7, 0
	;; [unrolled: 1-line block ×3, first 2 shown]
	s_and_saveexec_b64 s[0:1], vcc
	s_cbranch_execnz .LBB28_50
; %bb.46:
	s_or_b64 exec, exec, s[0:1]
	v_cmp_lt_u64_e32 vcc, v[6:7], v[12:13]
	s_and_saveexec_b64 s[0:1], vcc
	s_cbranch_execnz .LBB28_51
.LBB28_47:
	s_or_b64 exec, exec, s[0:1]
	v_cmp_lt_u64_e32 vcc, v[6:7], v[12:13]
	s_and_saveexec_b64 s[0:1], vcc
	s_cbranch_execnz .LBB28_52
.LBB28_48:
	s_or_b64 exec, exec, s[0:1]
	v_cmp_lt_u64_e32 vcc, v[6:7], v[12:13]
	s_and_saveexec_b64 s[0:1], vcc
	s_cbranch_execnz .LBB28_53
.LBB28_49:
	s_or_b64 exec, exec, s[0:1]
	v_cmp_lt_u64_e32 vcc, v[6:7], v[12:13]
	s_and_saveexec_b64 s[0:1], vcc
	s_cbranch_execnz .LBB28_54
	s_branch .LBB28_57
.LBB28_50:
	s_movk_i32 s8, 0x1ff
	v_mad_u64_u32 v[6:7], s[6:7], v0, s8, 0
	v_mov_b32_e32 v14, s15
	v_mad_u64_u32 v[12:13], s[6:7], v1, s8, v[7:8]
	v_mov_b32_e32 v7, v12
	v_lshrrev_b64 v[12:13], 9, v[6:7]
	v_lshlrev_b64 v[6:7], 2, v[12:13]
	v_add_co_u32_e32 v6, vcc, s14, v6
	v_addc_co_u32_e32 v7, vcc, v14, v7, vcc
	global_load_dword v6, v[6:7], off
	v_add_co_u32_e32 v14, vcc, 1, v12
	v_addc_co_u32_e32 v7, vcc, 0, v13, vcc
	s_waitcnt vmcnt(0)
	v_cmp_lt_i32_e32 vcc, v6, v18
	v_cndmask_b32_e32 v7, 0, v7, vcc
	v_cndmask_b32_e32 v6, 0, v14, vcc
	;; [unrolled: 1-line block ×4, first 2 shown]
	s_or_b64 exec, exec, s[0:1]
	v_cmp_lt_u64_e32 vcc, v[6:7], v[12:13]
	s_and_saveexec_b64 s[0:1], vcc
	s_cbranch_execz .LBB28_47
.LBB28_51:
	s_movk_i32 s8, 0x7f
	v_mad_u64_u32 v[14:15], s[6:7], v12, s8, v[6:7]
	s_waitcnt vmcnt(2)
	v_mov_b32_e32 v19, s15
	v_mad_u64_u32 v[15:16], s[6:7], v13, s8, v[15:16]
	v_lshrrev_b64 v[14:15], 7, v[14:15]
	v_lshlrev_b64 v[16:17], 2, v[14:15]
	v_add_co_u32_e32 v16, vcc, s14, v16
	v_addc_co_u32_e32 v17, vcc, v19, v17, vcc
	global_load_dword v16, v[16:17], off
	v_add_co_u32_e32 v17, vcc, 1, v14
	v_addc_co_u32_e32 v19, vcc, 0, v15, vcc
	s_waitcnt vmcnt(0)
	v_cmp_lt_i32_e32 vcc, v16, v18
	v_cndmask_b32_e32 v7, v7, v19, vcc
	v_cndmask_b32_e32 v6, v6, v17, vcc
	;; [unrolled: 1-line block ×4, first 2 shown]
	s_or_b64 exec, exec, s[0:1]
	v_cmp_lt_u64_e32 vcc, v[6:7], v[12:13]
	s_and_saveexec_b64 s[0:1], vcc
	s_cbranch_execz .LBB28_48
.LBB28_52:
	v_mad_u64_u32 v[14:15], s[6:7], v12, 31, v[6:7]
	s_waitcnt vmcnt(2)
	v_mov_b32_e32 v19, s15
	v_mad_u64_u32 v[15:16], s[6:7], v13, 31, v[15:16]
	v_lshrrev_b64 v[14:15], 5, v[14:15]
	v_lshlrev_b64 v[16:17], 2, v[14:15]
	v_add_co_u32_e32 v16, vcc, s14, v16
	v_addc_co_u32_e32 v17, vcc, v19, v17, vcc
	global_load_dword v16, v[16:17], off
	v_add_co_u32_e32 v17, vcc, 1, v14
	v_addc_co_u32_e32 v19, vcc, 0, v15, vcc
	s_waitcnt vmcnt(0)
	v_cmp_lt_i32_e32 vcc, v16, v18
	v_cndmask_b32_e32 v7, v7, v19, vcc
	v_cndmask_b32_e32 v6, v6, v17, vcc
	;; [unrolled: 1-line block ×4, first 2 shown]
	s_or_b64 exec, exec, s[0:1]
	v_cmp_lt_u64_e32 vcc, v[6:7], v[12:13]
	s_and_saveexec_b64 s[0:1], vcc
	s_cbranch_execz .LBB28_49
.LBB28_53:
	v_mad_u64_u32 v[14:15], s[6:7], v12, 15, v[6:7]
	s_waitcnt vmcnt(2)
	v_mov_b32_e32 v19, s15
	v_mad_u64_u32 v[15:16], s[6:7], v13, 15, v[15:16]
	v_lshrrev_b64 v[14:15], 4, v[14:15]
	v_lshlrev_b64 v[16:17], 2, v[14:15]
	v_add_co_u32_e32 v16, vcc, s14, v16
	v_addc_co_u32_e32 v17, vcc, v19, v17, vcc
	global_load_dword v16, v[16:17], off
	v_add_co_u32_e32 v17, vcc, 1, v14
	v_addc_co_u32_e32 v19, vcc, 0, v15, vcc
	s_waitcnt vmcnt(0)
	v_cmp_lt_i32_e32 vcc, v16, v18
	v_cndmask_b32_e32 v7, v7, v19, vcc
	v_cndmask_b32_e32 v6, v6, v17, vcc
	v_cndmask_b32_e32 v13, v15, v13, vcc
	v_cndmask_b32_e32 v12, v14, v12, vcc
	s_or_b64 exec, exec, s[0:1]
	v_cmp_lt_u64_e32 vcc, v[6:7], v[12:13]
	s_and_saveexec_b64 s[0:1], vcc
	s_cbranch_execz .LBB28_57
.LBB28_54:
	s_mov_b64 s[6:7], 0
	v_mov_b32_e32 v14, s15
.LBB28_55:                              ; =>This Inner Loop Header: Depth=1
	v_add_co_u32_e32 v15, vcc, v6, v12
	v_addc_co_u32_e32 v16, vcc, v7, v13, vcc
	v_lshrrev_b64 v[15:16], 1, v[15:16]
	s_waitcnt vmcnt(2)
	v_lshlrev_b64 v[19:20], 2, v[15:16]
	v_add_co_u32_e32 v19, vcc, s14, v19
	v_addc_co_u32_e32 v20, vcc, v14, v20, vcc
	global_load_dword v17, v[19:20], off
	v_add_co_u32_e32 v19, vcc, 1, v15
	v_addc_co_u32_e32 v20, vcc, 0, v16, vcc
	s_waitcnt vmcnt(0)
	v_cmp_lt_i32_e32 vcc, v17, v18
	v_cndmask_b32_e32 v7, v7, v20, vcc
	v_cndmask_b32_e32 v6, v6, v19, vcc
	;; [unrolled: 1-line block ×4, first 2 shown]
	v_cmp_ge_i64_e32 vcc, v[6:7], v[12:13]
	s_or_b64 s[6:7], vcc, s[6:7]
	s_andn2_b64 exec, exec, s[6:7]
	s_cbranch_execnz .LBB28_55
; %bb.56:
	s_or_b64 exec, exec, s[6:7]
.LBB28_57:
	s_or_b64 exec, exec, s[0:1]
	v_mov_b32_e32 v12, 0
	v_cmp_lt_i64_e32 vcc, 0, v[10:11]
	v_mov_b32_e32 v15, v11
	v_mov_b32_e32 v13, 0
	;; [unrolled: 1-line block ×3, first 2 shown]
	s_and_saveexec_b64 s[0:1], vcc
	s_cbranch_execnz .LBB28_62
; %bb.58:
	s_or_b64 exec, exec, s[0:1]
	v_cmp_lt_i64_e32 vcc, v[12:13], v[14:15]
	s_and_saveexec_b64 s[0:1], vcc
	s_cbranch_execnz .LBB28_63
.LBB28_59:
	s_or_b64 exec, exec, s[0:1]
	v_cmp_lt_i64_e32 vcc, v[12:13], v[14:15]
	s_and_saveexec_b64 s[0:1], vcc
	s_cbranch_execnz .LBB28_64
.LBB28_60:
	s_or_b64 exec, exec, s[0:1]
	v_cmp_lt_i64_e32 vcc, v[12:13], v[14:15]
	s_and_saveexec_b64 s[0:1], vcc
	s_cbranch_execnz .LBB28_65
.LBB28_61:
	s_or_b64 exec, exec, s[0:1]
	v_cmp_lt_i64_e32 vcc, v[12:13], v[14:15]
	s_and_saveexec_b64 s[0:1], vcc
	s_cbranch_execnz .LBB28_66
	s_branch .LBB28_69
.LBB28_62:
	s_movk_i32 s8, 0x1ff
	v_mad_u64_u32 v[12:13], s[6:7], v10, s8, 0
	v_mov_b32_e32 v16, s3
	v_mad_u64_u32 v[13:14], s[6:7], v11, s8, v[13:14]
	v_lshrrev_b64 v[14:15], 9, v[12:13]
	v_lshlrev_b64 v[12:13], 2, v[14:15]
	v_add_co_u32_e32 v12, vcc, s2, v12
	v_addc_co_u32_e32 v13, vcc, v16, v13, vcc
	global_load_dword v12, v[12:13], off
	v_add_co_u32_e32 v16, vcc, 1, v14
	v_addc_co_u32_e32 v13, vcc, 0, v15, vcc
	s_waitcnt vmcnt(0)
	v_cmp_lt_i32_e32 vcc, v12, v18
	v_cndmask_b32_e32 v13, 0, v13, vcc
	v_cndmask_b32_e32 v12, 0, v16, vcc
	;; [unrolled: 1-line block ×4, first 2 shown]
	s_or_b64 exec, exec, s[0:1]
	v_cmp_lt_i64_e32 vcc, v[12:13], v[14:15]
	s_and_saveexec_b64 s[0:1], vcc
	s_cbranch_execz .LBB28_59
.LBB28_63:
	s_movk_i32 s8, 0x7f
	v_mad_u64_u32 v[16:17], s[6:7], v14, s8, v[12:13]
	v_mov_b32_e32 v21, s3
	s_waitcnt vmcnt(0)
	v_mad_u64_u32 v[19:20], s[6:7], v15, s8, v[17:18]
	v_mov_b32_e32 v17, v19
	v_lshrrev_b64 v[16:17], 7, v[16:17]
	v_lshlrev_b64 v[19:20], 2, v[16:17]
	v_add_co_u32_e32 v19, vcc, s2, v19
	v_addc_co_u32_e32 v20, vcc, v21, v20, vcc
	global_load_dword v19, v[19:20], off
	v_add_co_u32_e32 v20, vcc, 1, v16
	v_addc_co_u32_e32 v21, vcc, 0, v17, vcc
	s_waitcnt vmcnt(0)
	v_cmp_lt_i32_e32 vcc, v19, v18
	v_cndmask_b32_e32 v13, v13, v21, vcc
	v_cndmask_b32_e32 v12, v12, v20, vcc
	v_cndmask_b32_e32 v15, v17, v15, vcc
	v_cndmask_b32_e32 v14, v16, v14, vcc
	s_or_b64 exec, exec, s[0:1]
	v_cmp_lt_i64_e32 vcc, v[12:13], v[14:15]
	s_and_saveexec_b64 s[0:1], vcc
	s_cbranch_execz .LBB28_60
.LBB28_64:
	v_mad_u64_u32 v[16:17], s[6:7], v14, 31, v[12:13]
	v_mov_b32_e32 v21, s3
	s_waitcnt vmcnt(0)
	v_mad_u64_u32 v[19:20], s[6:7], v15, 31, v[17:18]
	v_mov_b32_e32 v17, v19
	v_lshrrev_b64 v[16:17], 5, v[16:17]
	v_lshlrev_b64 v[19:20], 2, v[16:17]
	v_add_co_u32_e32 v19, vcc, s2, v19
	v_addc_co_u32_e32 v20, vcc, v21, v20, vcc
	global_load_dword v19, v[19:20], off
	v_add_co_u32_e32 v20, vcc, 1, v16
	v_addc_co_u32_e32 v21, vcc, 0, v17, vcc
	s_waitcnt vmcnt(0)
	v_cmp_lt_i32_e32 vcc, v19, v18
	v_cndmask_b32_e32 v13, v13, v21, vcc
	v_cndmask_b32_e32 v12, v12, v20, vcc
	;; [unrolled: 1-line block ×4, first 2 shown]
	s_or_b64 exec, exec, s[0:1]
	v_cmp_lt_i64_e32 vcc, v[12:13], v[14:15]
	s_and_saveexec_b64 s[0:1], vcc
	s_cbranch_execz .LBB28_61
.LBB28_65:
	v_mad_u64_u32 v[16:17], s[6:7], v14, 15, v[12:13]
	v_mov_b32_e32 v21, s3
	s_waitcnt vmcnt(0)
	v_mad_u64_u32 v[19:20], s[6:7], v15, 15, v[17:18]
	v_mov_b32_e32 v17, v19
	v_lshrrev_b64 v[16:17], 4, v[16:17]
	v_lshlrev_b64 v[19:20], 2, v[16:17]
	v_add_co_u32_e32 v19, vcc, s2, v19
	v_addc_co_u32_e32 v20, vcc, v21, v20, vcc
	global_load_dword v19, v[19:20], off
	v_add_co_u32_e32 v20, vcc, 1, v16
	v_addc_co_u32_e32 v21, vcc, 0, v17, vcc
	s_waitcnt vmcnt(0)
	v_cmp_lt_i32_e32 vcc, v19, v18
	v_cndmask_b32_e32 v13, v13, v21, vcc
	v_cndmask_b32_e32 v12, v12, v20, vcc
	;; [unrolled: 1-line block ×4, first 2 shown]
	s_or_b64 exec, exec, s[0:1]
	v_cmp_lt_i64_e32 vcc, v[12:13], v[14:15]
	s_and_saveexec_b64 s[0:1], vcc
	s_cbranch_execz .LBB28_69
.LBB28_66:
	s_mov_b64 s[6:7], 0
	v_mov_b32_e32 v16, s3
.LBB28_67:                              ; =>This Inner Loop Header: Depth=1
	s_waitcnt vmcnt(2)
	v_add_co_u32_e32 v19, vcc, v12, v14
	v_addc_co_u32_e32 v20, vcc, v13, v15, vcc
	v_lshrrev_b64 v[19:20], 1, v[19:20]
	v_lshlrev_b64 v[21:22], 2, v[19:20]
	v_add_co_u32_e32 v21, vcc, s2, v21
	v_addc_co_u32_e32 v22, vcc, v16, v22, vcc
	global_load_dword v17, v[21:22], off
	v_add_co_u32_e32 v21, vcc, 1, v19
	v_addc_co_u32_e32 v22, vcc, 0, v20, vcc
	s_waitcnt vmcnt(0)
	v_cmp_lt_i32_e32 vcc, v17, v18
	v_cndmask_b32_e32 v13, v13, v22, vcc
	v_cndmask_b32_e32 v12, v12, v21, vcc
	v_cndmask_b32_e32 v15, v20, v15, vcc
	v_cndmask_b32_e32 v14, v19, v14, vcc
	v_cmp_ge_i64_e32 vcc, v[12:13], v[14:15]
	s_or_b64 s[6:7], vcc, s[6:7]
	s_andn2_b64 exec, exec, s[6:7]
	s_cbranch_execnz .LBB28_67
; %bb.68:
	s_or_b64 exec, exec, s[6:7]
.LBB28_69:
	s_or_b64 exec, exec, s[0:1]
	v_sub_co_u32_e32 v0, vcc, v0, v6
	v_subb_co_u32_e32 v1, vcc, v1, v7, vcc
	v_sub_co_u32_e32 v16, vcc, v10, v12
	v_subb_co_u32_e32 v17, vcc, v11, v13, vcc
	v_add_co_u32_e32 v14, vcc, v16, v0
	v_addc_co_u32_e32 v15, vcc, v17, v1, vcc
	v_ashrrev_i64 v[0:1], 1, v[14:15]
	s_waitcnt vmcnt(2)
	v_mov_b32_e32 v19, s11
	v_cmp_gt_i64_e32 vcc, v[0:1], v[16:17]
	v_cndmask_b32_e32 v0, v16, v0, vcc
	v_cndmask_b32_e32 v1, v17, v1, vcc
	v_add_co_u32_e32 v12, vcc, v12, v0
	v_addc_co_u32_e32 v13, vcc, v13, v1, vcc
	v_add_co_u32_e32 v12, vcc, 1, v12
	v_addc_co_u32_e32 v13, vcc, 0, v13, vcc
	v_cmp_gt_i64_e32 vcc, s[10:11], v[12:13]
	v_cndmask_b32_e32 v13, v19, v13, vcc
	v_mov_b32_e32 v19, s10
	v_cndmask_b32_e32 v12, v19, v12, vcc
	v_sub_co_u32_e32 v12, vcc, v12, v10
	v_subb_co_u32_e32 v13, vcc, v13, v11, vcc
	v_mov_b32_e32 v10, 0
	v_cmp_lt_i64_e32 vcc, 0, v[12:13]
	v_mov_b32_e32 v11, 0
	s_and_saveexec_b64 s[0:1], vcc
	s_cbranch_execz .LBB28_73
; %bb.70:
	v_mov_b32_e32 v10, 0
	v_mov_b32_e32 v11, 0
	s_mov_b64 s[2:3], 0
.LBB28_71:                              ; =>This Inner Loop Header: Depth=1
	v_add_co_u32_e32 v19, vcc, v10, v12
	v_addc_co_u32_e32 v20, vcc, v11, v13, vcc
	v_lshrrev_b64 v[19:20], 1, v[19:20]
	v_lshlrev_b64 v[21:22], 2, v[19:20]
	v_add_co_u32_e32 v21, vcc, v8, v21
	v_addc_co_u32_e32 v22, vcc, v9, v22, vcc
	global_load_dword v21, v[21:22], off
	v_add_co_u32_e32 v22, vcc, 1, v19
	v_addc_co_u32_e32 v23, vcc, 0, v20, vcc
	s_waitcnt vmcnt(0)
	v_cmp_lt_i32_e32 vcc, v18, v21
	v_cndmask_b32_e32 v11, v23, v11, vcc
	v_cndmask_b32_e32 v10, v22, v10, vcc
	;; [unrolled: 1-line block ×4, first 2 shown]
	v_cmp_ge_i64_e32 vcc, v[10:11], v[12:13]
	s_or_b64 s[2:3], vcc, s[2:3]
	s_andn2_b64 exec, exec, s[2:3]
	s_cbranch_execnz .LBB28_71
; %bb.72:
	s_or_b64 exec, exec, s[2:3]
	v_ashrrev_i32_e32 v11, 31, v10
.LBB28_73:
	s_or_b64 exec, exec, s[0:1]
	v_add_co_u32_e32 v8, vcc, v10, v16
	v_addc_co_u32_e32 v9, vcc, v11, v17, vcc
	v_cmp_lt_i64_e32 vcc, v[8:9], v[0:1]
	v_cmp_lt_i64_e64 s[0:1], v[0:1], v[8:9]
	v_cndmask_b32_e32 v12, v0, v8, vcc
	v_cndmask_b32_e32 v13, v1, v9, vcc
	v_sub_co_u32_e32 v10, vcc, v14, v12
	v_subb_co_u32_e32 v11, vcc, v15, v13, vcc
	v_add_co_u32_e32 v12, vcc, 1, v12
	v_addc_co_u32_e32 v13, vcc, 0, v13, vcc
	v_cmp_eq_u64_e32 vcc, v[10:11], v[12:13]
	s_and_b64 s[0:1], vcc, s[0:1]
	v_cndmask_b32_e64 v8, 0, 1, s[0:1]
	s_mov_b32 s0, 0
	v_add_co_u32_e32 v0, vcc, v10, v6
	v_mov_b32_e32 v9, s0
	v_addc_co_u32_e32 v1, vcc, v11, v7, vcc
.LBB28_74:
	s_or_b64 exec, exec, s[4:5]
	v_lshlrev_b64 v[2:3], 4, v[2:3]
	v_mov_b32_e32 v7, s13
	v_add_co_u32_e32 v6, vcc, s12, v2
	v_addc_co_u32_e32 v7, vcc, v7, v3, vcc
	v_add_co_u32_e32 v2, vcc, v8, v4
	v_addc_co_u32_e32 v3, vcc, v9, v5, vcc
	v_sub_co_u32_e32 v2, vcc, v2, v0
	v_subb_co_u32_e32 v3, vcc, v3, v1, vcc
	global_store_dwordx4 v[6:7], v[0:3], off
	s_endpgm
	.section	.rodata,"a",@progbits
	.p2align	6, 0x0
	.amdhsa_kernel _ZN6thrust23THRUST_200600_302600_NS11hip_rocprim14__parallel_for6kernelILj256EZNS1_16__set_operations9doit_stepILb0ENS0_6detail15normal_iteratorINS0_10device_ptrIKiEEEESB_PiSC_lNS0_16discard_iteratorINS0_11use_defaultEEESC_NS0_4lessIiEENS4_23serial_set_intersectionEEE10hipError_tPvRmT0_T1_T2_T3_T4_SQ_T5_T6_PSQ_T7_T8_P12ihipStream_tbEUllE_jLj1EEEvSM_SN_SN_
		.amdhsa_group_segment_fixed_size 0
		.amdhsa_private_segment_fixed_size 0
		.amdhsa_kernarg_size 56
		.amdhsa_user_sgpr_count 6
		.amdhsa_user_sgpr_private_segment_buffer 1
		.amdhsa_user_sgpr_dispatch_ptr 0
		.amdhsa_user_sgpr_queue_ptr 0
		.amdhsa_user_sgpr_kernarg_segment_ptr 1
		.amdhsa_user_sgpr_dispatch_id 0
		.amdhsa_user_sgpr_flat_scratch_init 0
		.amdhsa_user_sgpr_private_segment_size 0
		.amdhsa_uses_dynamic_stack 0
		.amdhsa_system_sgpr_private_segment_wavefront_offset 0
		.amdhsa_system_sgpr_workgroup_id_x 1
		.amdhsa_system_sgpr_workgroup_id_y 0
		.amdhsa_system_sgpr_workgroup_id_z 0
		.amdhsa_system_sgpr_workgroup_info 0
		.amdhsa_system_vgpr_workitem_id 0
		.amdhsa_next_free_vgpr 25
		.amdhsa_next_free_sgpr 20
		.amdhsa_reserve_vcc 1
		.amdhsa_reserve_flat_scratch 0
		.amdhsa_float_round_mode_32 0
		.amdhsa_float_round_mode_16_64 0
		.amdhsa_float_denorm_mode_32 3
		.amdhsa_float_denorm_mode_16_64 3
		.amdhsa_dx10_clamp 1
		.amdhsa_ieee_mode 1
		.amdhsa_fp16_overflow 0
		.amdhsa_exception_fp_ieee_invalid_op 0
		.amdhsa_exception_fp_denorm_src 0
		.amdhsa_exception_fp_ieee_div_zero 0
		.amdhsa_exception_fp_ieee_overflow 0
		.amdhsa_exception_fp_ieee_underflow 0
		.amdhsa_exception_fp_ieee_inexact 0
		.amdhsa_exception_int_div_zero 0
	.end_amdhsa_kernel
	.section	.text._ZN6thrust23THRUST_200600_302600_NS11hip_rocprim14__parallel_for6kernelILj256EZNS1_16__set_operations9doit_stepILb0ENS0_6detail15normal_iteratorINS0_10device_ptrIKiEEEESB_PiSC_lNS0_16discard_iteratorINS0_11use_defaultEEESC_NS0_4lessIiEENS4_23serial_set_intersectionEEE10hipError_tPvRmT0_T1_T2_T3_T4_SQ_T5_T6_PSQ_T7_T8_P12ihipStream_tbEUllE_jLj1EEEvSM_SN_SN_,"axG",@progbits,_ZN6thrust23THRUST_200600_302600_NS11hip_rocprim14__parallel_for6kernelILj256EZNS1_16__set_operations9doit_stepILb0ENS0_6detail15normal_iteratorINS0_10device_ptrIKiEEEESB_PiSC_lNS0_16discard_iteratorINS0_11use_defaultEEESC_NS0_4lessIiEENS4_23serial_set_intersectionEEE10hipError_tPvRmT0_T1_T2_T3_T4_SQ_T5_T6_PSQ_T7_T8_P12ihipStream_tbEUllE_jLj1EEEvSM_SN_SN_,comdat
.Lfunc_end28:
	.size	_ZN6thrust23THRUST_200600_302600_NS11hip_rocprim14__parallel_for6kernelILj256EZNS1_16__set_operations9doit_stepILb0ENS0_6detail15normal_iteratorINS0_10device_ptrIKiEEEESB_PiSC_lNS0_16discard_iteratorINS0_11use_defaultEEESC_NS0_4lessIiEENS4_23serial_set_intersectionEEE10hipError_tPvRmT0_T1_T2_T3_T4_SQ_T5_T6_PSQ_T7_T8_P12ihipStream_tbEUllE_jLj1EEEvSM_SN_SN_, .Lfunc_end28-_ZN6thrust23THRUST_200600_302600_NS11hip_rocprim14__parallel_for6kernelILj256EZNS1_16__set_operations9doit_stepILb0ENS0_6detail15normal_iteratorINS0_10device_ptrIKiEEEESB_PiSC_lNS0_16discard_iteratorINS0_11use_defaultEEESC_NS0_4lessIiEENS4_23serial_set_intersectionEEE10hipError_tPvRmT0_T1_T2_T3_T4_SQ_T5_T6_PSQ_T7_T8_P12ihipStream_tbEUllE_jLj1EEEvSM_SN_SN_
                                        ; -- End function
	.set _ZN6thrust23THRUST_200600_302600_NS11hip_rocprim14__parallel_for6kernelILj256EZNS1_16__set_operations9doit_stepILb0ENS0_6detail15normal_iteratorINS0_10device_ptrIKiEEEESB_PiSC_lNS0_16discard_iteratorINS0_11use_defaultEEESC_NS0_4lessIiEENS4_23serial_set_intersectionEEE10hipError_tPvRmT0_T1_T2_T3_T4_SQ_T5_T6_PSQ_T7_T8_P12ihipStream_tbEUllE_jLj1EEEvSM_SN_SN_.num_vgpr, 25
	.set _ZN6thrust23THRUST_200600_302600_NS11hip_rocprim14__parallel_for6kernelILj256EZNS1_16__set_operations9doit_stepILb0ENS0_6detail15normal_iteratorINS0_10device_ptrIKiEEEESB_PiSC_lNS0_16discard_iteratorINS0_11use_defaultEEESC_NS0_4lessIiEENS4_23serial_set_intersectionEEE10hipError_tPvRmT0_T1_T2_T3_T4_SQ_T5_T6_PSQ_T7_T8_P12ihipStream_tbEUllE_jLj1EEEvSM_SN_SN_.num_agpr, 0
	.set _ZN6thrust23THRUST_200600_302600_NS11hip_rocprim14__parallel_for6kernelILj256EZNS1_16__set_operations9doit_stepILb0ENS0_6detail15normal_iteratorINS0_10device_ptrIKiEEEESB_PiSC_lNS0_16discard_iteratorINS0_11use_defaultEEESC_NS0_4lessIiEENS4_23serial_set_intersectionEEE10hipError_tPvRmT0_T1_T2_T3_T4_SQ_T5_T6_PSQ_T7_T8_P12ihipStream_tbEUllE_jLj1EEEvSM_SN_SN_.numbered_sgpr, 20
	.set _ZN6thrust23THRUST_200600_302600_NS11hip_rocprim14__parallel_for6kernelILj256EZNS1_16__set_operations9doit_stepILb0ENS0_6detail15normal_iteratorINS0_10device_ptrIKiEEEESB_PiSC_lNS0_16discard_iteratorINS0_11use_defaultEEESC_NS0_4lessIiEENS4_23serial_set_intersectionEEE10hipError_tPvRmT0_T1_T2_T3_T4_SQ_T5_T6_PSQ_T7_T8_P12ihipStream_tbEUllE_jLj1EEEvSM_SN_SN_.num_named_barrier, 0
	.set _ZN6thrust23THRUST_200600_302600_NS11hip_rocprim14__parallel_for6kernelILj256EZNS1_16__set_operations9doit_stepILb0ENS0_6detail15normal_iteratorINS0_10device_ptrIKiEEEESB_PiSC_lNS0_16discard_iteratorINS0_11use_defaultEEESC_NS0_4lessIiEENS4_23serial_set_intersectionEEE10hipError_tPvRmT0_T1_T2_T3_T4_SQ_T5_T6_PSQ_T7_T8_P12ihipStream_tbEUllE_jLj1EEEvSM_SN_SN_.private_seg_size, 0
	.set _ZN6thrust23THRUST_200600_302600_NS11hip_rocprim14__parallel_for6kernelILj256EZNS1_16__set_operations9doit_stepILb0ENS0_6detail15normal_iteratorINS0_10device_ptrIKiEEEESB_PiSC_lNS0_16discard_iteratorINS0_11use_defaultEEESC_NS0_4lessIiEENS4_23serial_set_intersectionEEE10hipError_tPvRmT0_T1_T2_T3_T4_SQ_T5_T6_PSQ_T7_T8_P12ihipStream_tbEUllE_jLj1EEEvSM_SN_SN_.uses_vcc, 1
	.set _ZN6thrust23THRUST_200600_302600_NS11hip_rocprim14__parallel_for6kernelILj256EZNS1_16__set_operations9doit_stepILb0ENS0_6detail15normal_iteratorINS0_10device_ptrIKiEEEESB_PiSC_lNS0_16discard_iteratorINS0_11use_defaultEEESC_NS0_4lessIiEENS4_23serial_set_intersectionEEE10hipError_tPvRmT0_T1_T2_T3_T4_SQ_T5_T6_PSQ_T7_T8_P12ihipStream_tbEUllE_jLj1EEEvSM_SN_SN_.uses_flat_scratch, 0
	.set _ZN6thrust23THRUST_200600_302600_NS11hip_rocprim14__parallel_for6kernelILj256EZNS1_16__set_operations9doit_stepILb0ENS0_6detail15normal_iteratorINS0_10device_ptrIKiEEEESB_PiSC_lNS0_16discard_iteratorINS0_11use_defaultEEESC_NS0_4lessIiEENS4_23serial_set_intersectionEEE10hipError_tPvRmT0_T1_T2_T3_T4_SQ_T5_T6_PSQ_T7_T8_P12ihipStream_tbEUllE_jLj1EEEvSM_SN_SN_.has_dyn_sized_stack, 0
	.set _ZN6thrust23THRUST_200600_302600_NS11hip_rocprim14__parallel_for6kernelILj256EZNS1_16__set_operations9doit_stepILb0ENS0_6detail15normal_iteratorINS0_10device_ptrIKiEEEESB_PiSC_lNS0_16discard_iteratorINS0_11use_defaultEEESC_NS0_4lessIiEENS4_23serial_set_intersectionEEE10hipError_tPvRmT0_T1_T2_T3_T4_SQ_T5_T6_PSQ_T7_T8_P12ihipStream_tbEUllE_jLj1EEEvSM_SN_SN_.has_recursion, 0
	.set _ZN6thrust23THRUST_200600_302600_NS11hip_rocprim14__parallel_for6kernelILj256EZNS1_16__set_operations9doit_stepILb0ENS0_6detail15normal_iteratorINS0_10device_ptrIKiEEEESB_PiSC_lNS0_16discard_iteratorINS0_11use_defaultEEESC_NS0_4lessIiEENS4_23serial_set_intersectionEEE10hipError_tPvRmT0_T1_T2_T3_T4_SQ_T5_T6_PSQ_T7_T8_P12ihipStream_tbEUllE_jLj1EEEvSM_SN_SN_.has_indirect_call, 0
	.section	.AMDGPU.csdata,"",@progbits
; Kernel info:
; codeLenInByte = 3912
; TotalNumSgprs: 24
; NumVgprs: 25
; ScratchSize: 0
; MemoryBound: 0
; FloatMode: 240
; IeeeMode: 1
; LDSByteSize: 0 bytes/workgroup (compile time only)
; SGPRBlocks: 2
; VGPRBlocks: 6
; NumSGPRsForWavesPerEU: 24
; NumVGPRsForWavesPerEU: 25
; Occupancy: 9
; WaveLimiterHint : 0
; COMPUTE_PGM_RSRC2:SCRATCH_EN: 0
; COMPUTE_PGM_RSRC2:USER_SGPR: 6
; COMPUTE_PGM_RSRC2:TRAP_HANDLER: 0
; COMPUTE_PGM_RSRC2:TGID_X_EN: 1
; COMPUTE_PGM_RSRC2:TGID_Y_EN: 0
; COMPUTE_PGM_RSRC2:TGID_Z_EN: 0
; COMPUTE_PGM_RSRC2:TIDIG_COMP_CNT: 0
	.section	.text._ZN6thrust23THRUST_200600_302600_NS11hip_rocprim16__set_operations22lookback_set_op_kernelIN7rocprim17ROCPRIM_400000_NS13kernel_configILj256ELj16ELj4294967295EEELb0ENS0_6detail15normal_iteratorINS0_10device_ptrIKiEEEESD_PiSE_lNS0_16discard_iteratorINS0_11use_defaultEEESE_NS0_4lessIiEENS2_23serial_set_intersectionENS5_6detail19lookback_scan_stateIlLb0ELb1EEEEEvT1_T2_T3_T4_T6_T7_T8_T9_PNS0_4pairIT5_SX_EEPSX_T10_NSL_16ordered_block_idIjEE,"axG",@progbits,_ZN6thrust23THRUST_200600_302600_NS11hip_rocprim16__set_operations22lookback_set_op_kernelIN7rocprim17ROCPRIM_400000_NS13kernel_configILj256ELj16ELj4294967295EEELb0ENS0_6detail15normal_iteratorINS0_10device_ptrIKiEEEESD_PiSE_lNS0_16discard_iteratorINS0_11use_defaultEEESE_NS0_4lessIiEENS2_23serial_set_intersectionENS5_6detail19lookback_scan_stateIlLb0ELb1EEEEEvT1_T2_T3_T4_T6_T7_T8_T9_PNS0_4pairIT5_SX_EEPSX_T10_NSL_16ordered_block_idIjEE,comdat
	.protected	_ZN6thrust23THRUST_200600_302600_NS11hip_rocprim16__set_operations22lookback_set_op_kernelIN7rocprim17ROCPRIM_400000_NS13kernel_configILj256ELj16ELj4294967295EEELb0ENS0_6detail15normal_iteratorINS0_10device_ptrIKiEEEESD_PiSE_lNS0_16discard_iteratorINS0_11use_defaultEEESE_NS0_4lessIiEENS2_23serial_set_intersectionENS5_6detail19lookback_scan_stateIlLb0ELb1EEEEEvT1_T2_T3_T4_T6_T7_T8_T9_PNS0_4pairIT5_SX_EEPSX_T10_NSL_16ordered_block_idIjEE ; -- Begin function _ZN6thrust23THRUST_200600_302600_NS11hip_rocprim16__set_operations22lookback_set_op_kernelIN7rocprim17ROCPRIM_400000_NS13kernel_configILj256ELj16ELj4294967295EEELb0ENS0_6detail15normal_iteratorINS0_10device_ptrIKiEEEESD_PiSE_lNS0_16discard_iteratorINS0_11use_defaultEEESE_NS0_4lessIiEENS2_23serial_set_intersectionENS5_6detail19lookback_scan_stateIlLb0ELb1EEEEEvT1_T2_T3_T4_T6_T7_T8_T9_PNS0_4pairIT5_SX_EEPSX_T10_NSL_16ordered_block_idIjEE
	.globl	_ZN6thrust23THRUST_200600_302600_NS11hip_rocprim16__set_operations22lookback_set_op_kernelIN7rocprim17ROCPRIM_400000_NS13kernel_configILj256ELj16ELj4294967295EEELb0ENS0_6detail15normal_iteratorINS0_10device_ptrIKiEEEESD_PiSE_lNS0_16discard_iteratorINS0_11use_defaultEEESE_NS0_4lessIiEENS2_23serial_set_intersectionENS5_6detail19lookback_scan_stateIlLb0ELb1EEEEEvT1_T2_T3_T4_T6_T7_T8_T9_PNS0_4pairIT5_SX_EEPSX_T10_NSL_16ordered_block_idIjEE
	.p2align	8
	.type	_ZN6thrust23THRUST_200600_302600_NS11hip_rocprim16__set_operations22lookback_set_op_kernelIN7rocprim17ROCPRIM_400000_NS13kernel_configILj256ELj16ELj4294967295EEELb0ENS0_6detail15normal_iteratorINS0_10device_ptrIKiEEEESD_PiSE_lNS0_16discard_iteratorINS0_11use_defaultEEESE_NS0_4lessIiEENS2_23serial_set_intersectionENS5_6detail19lookback_scan_stateIlLb0ELb1EEEEEvT1_T2_T3_T4_T6_T7_T8_T9_PNS0_4pairIT5_SX_EEPSX_T10_NSL_16ordered_block_idIjEE,@function
_ZN6thrust23THRUST_200600_302600_NS11hip_rocprim16__set_operations22lookback_set_op_kernelIN7rocprim17ROCPRIM_400000_NS13kernel_configILj256ELj16ELj4294967295EEELb0ENS0_6detail15normal_iteratorINS0_10device_ptrIKiEEEESD_PiSE_lNS0_16discard_iteratorINS0_11use_defaultEEESE_NS0_4lessIiEENS2_23serial_set_intersectionENS5_6detail19lookback_scan_stateIlLb0ELb1EEEEEvT1_T2_T3_T4_T6_T7_T8_T9_PNS0_4pairIT5_SX_EEPSX_T10_NSL_16ordered_block_idIjEE: ; @_ZN6thrust23THRUST_200600_302600_NS11hip_rocprim16__set_operations22lookback_set_op_kernelIN7rocprim17ROCPRIM_400000_NS13kernel_configILj256ELj16ELj4294967295EEELb0ENS0_6detail15normal_iteratorINS0_10device_ptrIKiEEEESD_PiSE_lNS0_16discard_iteratorINS0_11use_defaultEEESE_NS0_4lessIiEENS2_23serial_set_intersectionENS5_6detail19lookback_scan_stateIlLb0ELb1EEEEEvT1_T2_T3_T4_T6_T7_T8_T9_PNS0_4pairIT5_SX_EEPSX_T10_NSL_16ordered_block_idIjEE
; %bb.0:
	s_load_dword s0, s[4:5], 0x6c
	s_load_dword s16, s[4:5], 0x60
	s_load_dwordx8 s[8:15], s[4:5], 0x40
	s_waitcnt lgkmcnt(0)
	s_lshr_b32 s1, s0, 16
	s_and_b32 s0, s0, 0xffff
	v_mad_u32_u24 v1, v2, s1, v1
	v_mul_lo_u32 v1, v1, s0
	v_sub_u32_e32 v2, 0, v0
	v_cmp_eq_u32_e32 vcc, v1, v2
	s_and_saveexec_b64 s[0:1], vcc
	s_cbranch_execz .LBB29_4
; %bb.1:
	s_mov_b64 s[6:7], exec
	v_mbcnt_lo_u32_b32 v1, s6, 0
	v_mbcnt_hi_u32_b32 v1, s7, v1
	v_cmp_eq_u32_e32 vcc, 0, v1
                                        ; implicit-def: $vgpr2
	s_and_saveexec_b64 s[2:3], vcc
	s_cbranch_execz .LBB29_3
; %bb.2:
	s_bcnt1_i32_b64 s6, s[6:7]
	v_mov_b32_e32 v2, 0
	v_mov_b32_e32 v3, s6
	global_atomic_add v2, v2, v3, s[14:15] glc
.LBB29_3:
	s_or_b64 exec, exec, s[2:3]
	s_waitcnt vmcnt(0)
	v_readfirstlane_b32 s2, v2
	v_add_u32_e32 v1, s2, v1
	v_mov_b32_e32 v2, 0
	ds_write_b32 v2, v1 offset:36864
.LBB29_4:
	s_or_b64 exec, exec, s[0:1]
	v_mov_b32_e32 v1, 0
	s_waitcnt lgkmcnt(0)
	s_barrier
	ds_read_b32 v9, v1 offset:36864
	s_add_i32 s16, s16, -1
	s_waitcnt lgkmcnt(0)
	v_readfirstlane_b32 s6, v9
	s_ashr_i32 s7, s6, 31
	s_lshl_b64 s[0:1], s[6:7], 4
	s_add_u32 s0, s8, s0
	s_addc_u32 s1, s9, s1
	global_load_dwordx4 v[2:5], v1, s[0:1] offset:16
	global_load_dwordx4 v[5:8], v1, s[0:1]
                                        ; kill: killed $sgpr0 killed $sgpr1
	s_load_dwordx4 s[0:3], s[4:5], 0x0
	v_cmp_le_i32_e32 vcc, s16, v9
	s_and_b64 vcc, exec, vcc
	s_waitcnt lgkmcnt(0)
	v_mov_b32_e32 v10, s1
	v_mov_b32_e32 v11, s3
	s_waitcnt vmcnt(0)
	v_sub_u32_e32 v18, v2, v5
	v_lshlrev_b64 v[2:3], 2, v[5:6]
	v_sub_u32_e32 v19, v4, v7
	v_lshlrev_b64 v[4:5], 2, v[7:8]
	v_add_co_u32_e64 v22, s[0:1], s0, v2
	v_addc_co_u32_e64 v23, s[0:1], v10, v3, s[0:1]
	v_add_co_u32_e64 v20, s[0:1], s2, v4
	v_addc_co_u32_e64 v21, s[0:1], v11, v5, s[0:1]
	s_mov_b64 s[0:1], -1
	s_cbranch_vccnz .LBB29_7
; %bb.5:
	s_and_b64 vcc, exec, s[0:1]
	s_cbranch_vccnz .LBB29_242
.LBB29_6:
	s_endpgm
.LBB29_7:
	v_add_u32_e32 v3, v19, v18
	v_cmp_lt_i32_e32 vcc, v0, v3
	v_mov_b32_e32 v2, v1
	v_mov_b32_e32 v4, v1
	;; [unrolled: 1-line block ×15, first 2 shown]
	s_and_saveexec_b64 s[0:1], vcc
	s_cbranch_execz .LBB29_9
; %bb.8:
	v_lshlrev_b32_e32 v1, 2, v0
	v_mov_b32_e32 v2, 0
	v_add_co_u32_e32 v6, vcc, v22, v1
	v_sub_u32_e32 v1, v0, v18
	v_lshlrev_b64 v[4:5], 2, v[1:2]
	v_addc_co_u32_e32 v7, vcc, 0, v23, vcc
	v_add_co_u32_e32 v1, vcc, v20, v4
	v_addc_co_u32_e32 v4, vcc, v21, v5, vcc
	v_cmp_lt_i32_e32 vcc, v0, v18
	v_cndmask_b32_e32 v5, v4, v7, vcc
	v_cndmask_b32_e32 v4, v1, v6, vcc
	global_load_dword v1, v[4:5], off
	v_mov_b32_e32 v4, v2
	v_mov_b32_e32 v6, v2
	v_mov_b32_e32 v5, v2
	v_mov_b32_e32 v7, v2
	v_mov_b32_e32 v8, v2
	v_mov_b32_e32 v9, v2
	v_mov_b32_e32 v10, v2
	v_mov_b32_e32 v11, v2
	v_mov_b32_e32 v12, v2
	v_mov_b32_e32 v13, v2
	v_mov_b32_e32 v14, v2
	v_mov_b32_e32 v15, v2
	v_mov_b32_e32 v16, v2
	v_mov_b32_e32 v17, v2
.LBB29_9:
	s_or_b64 exec, exec, s[0:1]
	v_or_b32_e32 v24, 0x100, v0
	v_cmp_lt_i32_e32 vcc, v24, v3
	s_and_saveexec_b64 s[0:1], vcc
	s_cbranch_execz .LBB29_11
; %bb.10:
	v_lshlrev_b32_e32 v2, 2, v0
	v_add_co_u32_e32 v2, vcc, v22, v2
	v_addc_co_u32_e32 v25, vcc, 0, v23, vcc
	v_add_co_u32_e32 v2, vcc, 0x400, v2
	v_mov_b32_e32 v26, 0
	v_addc_co_u32_e32 v27, vcc, 0, v25, vcc
	v_sub_u32_e32 v25, v24, v18
	v_lshlrev_b64 v[25:26], 2, v[25:26]
	v_add_co_u32_e32 v28, vcc, v20, v25
	v_addc_co_u32_e32 v25, vcc, v21, v26, vcc
	v_cmp_lt_i32_e32 vcc, v24, v18
	v_cndmask_b32_e32 v25, v25, v27, vcc
	v_cndmask_b32_e32 v24, v28, v2, vcc
	global_load_dword v2, v[24:25], off
.LBB29_11:
	s_or_b64 exec, exec, s[0:1]
	v_or_b32_e32 v24, 0x200, v0
	v_cmp_lt_i32_e32 vcc, v24, v3
	s_and_saveexec_b64 s[0:1], vcc
	s_cbranch_execz .LBB29_13
; %bb.12:
	v_lshlrev_b32_e32 v4, 2, v0
	v_add_co_u32_e32 v4, vcc, v22, v4
	v_addc_co_u32_e32 v25, vcc, 0, v23, vcc
	v_add_co_u32_e32 v4, vcc, 0x800, v4
	v_mov_b32_e32 v26, 0
	v_addc_co_u32_e32 v27, vcc, 0, v25, vcc
	v_sub_u32_e32 v25, v24, v18
	v_lshlrev_b64 v[25:26], 2, v[25:26]
	v_add_co_u32_e32 v28, vcc, v20, v25
	v_addc_co_u32_e32 v25, vcc, v21, v26, vcc
	v_cmp_lt_i32_e32 vcc, v24, v18
	v_cndmask_b32_e32 v25, v25, v27, vcc
	v_cndmask_b32_e32 v24, v28, v4, vcc
	global_load_dword v4, v[24:25], off
.LBB29_13:
	;; [unrolled: 21-line block ×3, first 2 shown]
	s_or_b64 exec, exec, s[0:1]
	v_or_b32_e32 v24, 0x400, v0
	v_cmp_lt_i32_e32 vcc, v24, v3
	s_and_saveexec_b64 s[0:1], vcc
	s_cbranch_execz .LBB29_17
; %bb.16:
	v_lshlrev_b32_e32 v5, 2, v24
	v_mov_b32_e32 v26, 0
	v_sub_u32_e32 v25, v24, v18
	v_add_co_u32_e32 v5, vcc, v22, v5
	v_lshlrev_b64 v[25:26], 2, v[25:26]
	v_addc_co_u32_e32 v27, vcc, 0, v23, vcc
	v_add_co_u32_e32 v28, vcc, v20, v25
	v_addc_co_u32_e32 v25, vcc, v21, v26, vcc
	v_cmp_lt_i32_e32 vcc, v24, v18
	v_cndmask_b32_e32 v25, v25, v27, vcc
	v_cndmask_b32_e32 v24, v28, v5, vcc
	global_load_dword v5, v[24:25], off
.LBB29_17:
	s_or_b64 exec, exec, s[0:1]
	v_or_b32_e32 v24, 0x500, v0
	v_cmp_lt_i32_e32 vcc, v24, v3
	s_and_saveexec_b64 s[0:1], vcc
	s_cbranch_execz .LBB29_19
; %bb.18:
	v_lshlrev_b32_e32 v7, 2, v24
	v_mov_b32_e32 v26, 0
	v_sub_u32_e32 v25, v24, v18
	v_add_co_u32_e32 v7, vcc, v22, v7
	v_lshlrev_b64 v[25:26], 2, v[25:26]
	v_addc_co_u32_e32 v27, vcc, 0, v23, vcc
	v_add_co_u32_e32 v28, vcc, v20, v25
	v_addc_co_u32_e32 v25, vcc, v21, v26, vcc
	v_cmp_lt_i32_e32 vcc, v24, v18
	v_cndmask_b32_e32 v25, v25, v27, vcc
	v_cndmask_b32_e32 v24, v28, v7, vcc
	global_load_dword v7, v[24:25], off
.LBB29_19:
	;; [unrolled: 19-line block ×12, first 2 shown]
	s_or_b64 exec, exec, s[0:1]
	v_lshlrev_b32_e32 v24, 2, v0
	s_waitcnt vmcnt(0)
	ds_write2st64_b32 v24, v1, v2 offset0:76 offset1:80
	ds_write2st64_b32 v24, v4, v6 offset0:84 offset1:88
	;; [unrolled: 1-line block ×8, first 2 shown]
	v_lshlrev_b32_e32 v1, 4, v0
	v_min_i32_e32 v2, v3, v1
	v_lshlrev_b32_e32 v1, 2, v18
	v_add_u32_e32 v3, 0x4800, v1
	v_sub_u32_e32 v1, v2, v19
	v_max_i32_e32 v1, 0, v1
	v_min_i32_e32 v4, v18, v2
	v_cmp_lt_i32_e32 vcc, v1, v4
	s_waitcnt lgkmcnt(0)
	s_barrier
	s_and_saveexec_b64 s[0:1], vcc
	s_cbranch_execz .LBB29_43
; %bb.40:
	v_lshl_add_u32 v5, v2, 2, v3
	v_add_u32_e32 v5, 0x400, v5
	s_mov_b64 s[2:3], 0
.LBB29_41:                              ; =>This Inner Loop Header: Depth=1
	v_add_u32_e32 v6, v4, v1
	v_lshrrev_b32_e32 v6, 1, v6
	v_not_b32_e32 v8, v6
	v_lshlrev_b32_e32 v7, 2, v6
	v_lshl_add_u32 v8, v8, 2, v5
	ds_read_b32 v7, v7 offset:19456
	ds_read_b32 v8, v8
	v_add_u32_e32 v9, 1, v6
	s_waitcnt lgkmcnt(0)
	v_cmp_lt_i32_e32 vcc, v8, v7
	v_cndmask_b32_e32 v4, v4, v6, vcc
	v_cndmask_b32_e32 v1, v9, v1, vcc
	v_cmp_ge_i32_e32 vcc, v1, v4
	s_or_b64 s[2:3], vcc, s[2:3]
	s_andn2_b64 exec, exec, s[2:3]
	s_cbranch_execnz .LBB29_41
; %bb.42:
	s_or_b64 exec, exec, s[2:3]
.LBB29_43:
	s_or_b64 exec, exec, s[0:1]
	v_sub_u32_e32 v7, v2, v1
	v_or_b32_e32 v25, 0x4800, v24
	v_cmp_lt_i32_e32 vcc, v7, v19
	v_mov_b32_e32 v5, 0
	s_and_saveexec_b64 s[2:3], vcc
	s_cbranch_execz .LBB29_73
; %bb.44:
	v_lshl_add_u32 v5, v7, 2, v3
	ds_read_b32 v6, v5 offset:1024
	v_mov_b32_e32 v4, 0
	v_cmp_lt_i32_e32 vcc, 0, v1
	v_mov_b32_e32 v8, 0
	s_and_saveexec_b64 s[0:1], vcc
	s_cbranch_execnz .LBB29_49
; %bb.45:
	s_or_b64 exec, exec, s[0:1]
	v_cmp_lt_i32_e32 vcc, v4, v8
	s_and_saveexec_b64 s[0:1], vcc
	s_cbranch_execnz .LBB29_50
.LBB29_46:
	s_or_b64 exec, exec, s[0:1]
	v_cmp_lt_i32_e32 vcc, v4, v8
	s_and_saveexec_b64 s[0:1], vcc
	s_cbranch_execnz .LBB29_51
.LBB29_47:
	s_or_b64 exec, exec, s[0:1]
	v_cmp_lt_i32_e32 vcc, v4, v8
	s_and_saveexec_b64 s[0:1], vcc
	s_cbranch_execnz .LBB29_52
.LBB29_48:
	s_or_b64 exec, exec, s[0:1]
	v_cmp_lt_i32_e32 vcc, v4, v8
	s_and_saveexec_b64 s[0:1], vcc
	s_cbranch_execnz .LBB29_53
	s_branch .LBB29_56
.LBB29_49:
	s_movk_i32 s4, 0x1ff
	v_mul_lo_u32 v4, v1, s4
	v_ashrrev_i32_e32 v8, 9, v4
	v_lshlrev_b32_e32 v4, 2, v8
	ds_read_b32 v4, v4 offset:19456
	v_add_u32_e32 v9, 1, v8
	s_waitcnt lgkmcnt(0)
	v_cmp_lt_i32_e32 vcc, v4, v6
	v_cndmask_b32_e32 v4, 0, v9, vcc
	v_cndmask_b32_e32 v8, v8, v1, vcc
	s_or_b64 exec, exec, s[0:1]
	v_cmp_lt_i32_e32 vcc, v4, v8
	s_and_saveexec_b64 s[0:1], vcc
	s_cbranch_execz .LBB29_46
.LBB29_50:
	v_sub_u32_e32 v9, v4, v8
	v_lshl_add_u32 v9, v8, 7, v9
	v_ashrrev_i32_e32 v9, 7, v9
	v_lshlrev_b32_e32 v10, 2, v9
	ds_read_b32 v10, v10 offset:19456
	v_add_u32_e32 v11, 1, v9
	s_waitcnt lgkmcnt(0)
	v_cmp_lt_i32_e32 vcc, v10, v6
	v_cndmask_b32_e32 v4, v4, v11, vcc
	v_cndmask_b32_e32 v8, v9, v8, vcc
	s_or_b64 exec, exec, s[0:1]
	v_cmp_lt_i32_e32 vcc, v4, v8
	s_and_saveexec_b64 s[0:1], vcc
	s_cbranch_execz .LBB29_47
.LBB29_51:
	v_sub_u32_e32 v9, v4, v8
	v_lshl_add_u32 v9, v8, 5, v9
	v_ashrrev_i32_e32 v9, 5, v9
	v_lshlrev_b32_e32 v10, 2, v9
	ds_read_b32 v10, v10 offset:19456
	v_add_u32_e32 v11, 1, v9
	s_waitcnt lgkmcnt(0)
	v_cmp_lt_i32_e32 vcc, v10, v6
	v_cndmask_b32_e32 v4, v4, v11, vcc
	v_cndmask_b32_e32 v8, v9, v8, vcc
	s_or_b64 exec, exec, s[0:1]
	v_cmp_lt_i32_e32 vcc, v4, v8
	s_and_saveexec_b64 s[0:1], vcc
	s_cbranch_execz .LBB29_48
.LBB29_52:
	v_sub_u32_e32 v9, v4, v8
	v_lshl_add_u32 v9, v8, 4, v9
	v_ashrrev_i32_e32 v9, 4, v9
	v_lshlrev_b32_e32 v10, 2, v9
	ds_read_b32 v10, v10 offset:19456
	v_add_u32_e32 v11, 1, v9
	s_waitcnt lgkmcnt(0)
	v_cmp_lt_i32_e32 vcc, v10, v6
	v_cndmask_b32_e32 v4, v4, v11, vcc
	v_cndmask_b32_e32 v8, v9, v8, vcc
	s_or_b64 exec, exec, s[0:1]
	v_cmp_lt_i32_e32 vcc, v4, v8
	s_and_saveexec_b64 s[0:1], vcc
	s_cbranch_execz .LBB29_56
.LBB29_53:
	s_mov_b64 s[4:5], 0
.LBB29_54:                              ; =>This Inner Loop Header: Depth=1
	v_sub_u32_e32 v9, v4, v8
	v_lshl_add_u32 v9, v8, 1, v9
	v_ashrrev_i32_e32 v9, 1, v9
	v_lshlrev_b32_e32 v10, 2, v9
	ds_read_b32 v10, v10 offset:19456
	v_add_u32_e32 v11, 1, v9
	s_waitcnt lgkmcnt(0)
	v_cmp_lt_i32_e32 vcc, v10, v6
	v_cndmask_b32_e32 v4, v4, v11, vcc
	v_cndmask_b32_e32 v8, v9, v8, vcc
	v_cmp_ge_i32_e32 vcc, v4, v8
	s_or_b64 s[4:5], vcc, s[4:5]
	s_andn2_b64 exec, exec, s[4:5]
	s_cbranch_execnz .LBB29_54
; %bb.55:
	s_or_b64 exec, exec, s[4:5]
.LBB29_56:
	s_or_b64 exec, exec, s[0:1]
	v_mov_b32_e32 v8, 0
	v_cmp_lt_i32_e32 vcc, 0, v7
	v_mov_b32_e32 v9, v7
	s_and_saveexec_b64 s[0:1], vcc
	s_cbranch_execnz .LBB29_61
; %bb.57:
	s_or_b64 exec, exec, s[0:1]
	v_cmp_lt_i32_e32 vcc, v8, v9
	s_and_saveexec_b64 s[0:1], vcc
	s_cbranch_execnz .LBB29_62
.LBB29_58:
	s_or_b64 exec, exec, s[0:1]
	v_cmp_lt_i32_e32 vcc, v8, v9
	s_and_saveexec_b64 s[0:1], vcc
	s_cbranch_execnz .LBB29_63
.LBB29_59:
	s_or_b64 exec, exec, s[0:1]
	v_cmp_lt_i32_e32 vcc, v8, v9
	s_and_saveexec_b64 s[0:1], vcc
	s_cbranch_execnz .LBB29_64
.LBB29_60:
	s_or_b64 exec, exec, s[0:1]
	v_cmp_lt_i32_e32 vcc, v8, v9
	s_and_saveexec_b64 s[0:1], vcc
	s_cbranch_execnz .LBB29_65
	s_branch .LBB29_68
.LBB29_61:
	s_movk_i32 s4, 0x1ff
	v_mul_lo_u32 v8, v7, s4
	v_lshrrev_b32_e32 v9, 9, v8
	v_lshl_add_u32 v8, v9, 2, v3
	ds_read_b32 v8, v8 offset:1024
	v_add_u32_e32 v10, 1, v9
	s_waitcnt lgkmcnt(0)
	v_cmp_lt_i32_e32 vcc, v8, v6
	v_cndmask_b32_e32 v8, 0, v10, vcc
	v_cndmask_b32_e32 v9, v9, v7, vcc
	s_or_b64 exec, exec, s[0:1]
	v_cmp_lt_i32_e32 vcc, v8, v9
	s_and_saveexec_b64 s[0:1], vcc
	s_cbranch_execz .LBB29_58
.LBB29_62:
	v_sub_u32_e32 v10, v8, v9
	v_lshl_add_u32 v10, v9, 7, v10
	v_ashrrev_i32_e32 v10, 7, v10
	v_lshl_add_u32 v11, v10, 2, v3
	ds_read_b32 v11, v11 offset:1024
	v_add_u32_e32 v12, 1, v10
	s_waitcnt lgkmcnt(0)
	v_cmp_lt_i32_e32 vcc, v11, v6
	v_cndmask_b32_e32 v8, v8, v12, vcc
	v_cndmask_b32_e32 v9, v10, v9, vcc
	s_or_b64 exec, exec, s[0:1]
	v_cmp_lt_i32_e32 vcc, v8, v9
	s_and_saveexec_b64 s[0:1], vcc
	s_cbranch_execz .LBB29_59
.LBB29_63:
	v_sub_u32_e32 v10, v8, v9
	v_lshl_add_u32 v10, v9, 5, v10
	v_ashrrev_i32_e32 v10, 5, v10
	v_lshl_add_u32 v11, v10, 2, v3
	ds_read_b32 v11, v11 offset:1024
	v_add_u32_e32 v12, 1, v10
	s_waitcnt lgkmcnt(0)
	v_cmp_lt_i32_e32 vcc, v11, v6
	v_cndmask_b32_e32 v8, v8, v12, vcc
	v_cndmask_b32_e32 v9, v10, v9, vcc
	s_or_b64 exec, exec, s[0:1]
	v_cmp_lt_i32_e32 vcc, v8, v9
	s_and_saveexec_b64 s[0:1], vcc
	s_cbranch_execz .LBB29_60
.LBB29_64:
	v_sub_u32_e32 v10, v8, v9
	v_lshl_add_u32 v10, v9, 4, v10
	v_ashrrev_i32_e32 v10, 4, v10
	v_lshl_add_u32 v11, v10, 2, v3
	ds_read_b32 v11, v11 offset:1024
	v_add_u32_e32 v12, 1, v10
	s_waitcnt lgkmcnt(0)
	v_cmp_lt_i32_e32 vcc, v11, v6
	v_cndmask_b32_e32 v8, v8, v12, vcc
	v_cndmask_b32_e32 v9, v10, v9, vcc
	s_or_b64 exec, exec, s[0:1]
	v_cmp_lt_i32_e32 vcc, v8, v9
	s_and_saveexec_b64 s[0:1], vcc
	s_cbranch_execz .LBB29_68
.LBB29_65:
	s_mov_b64 s[4:5], 0
.LBB29_66:                              ; =>This Inner Loop Header: Depth=1
	v_sub_u32_e32 v10, v8, v9
	v_lshl_add_u32 v10, v9, 1, v10
	v_ashrrev_i32_e32 v10, 1, v10
	v_lshl_add_u32 v11, v10, 2, v3
	ds_read_b32 v11, v11 offset:1024
	v_add_u32_e32 v12, 1, v10
	s_waitcnt lgkmcnt(0)
	v_cmp_lt_i32_e32 vcc, v11, v6
	v_cndmask_b32_e32 v8, v8, v12, vcc
	v_cndmask_b32_e32 v9, v10, v9, vcc
	v_cmp_ge_i32_e32 vcc, v8, v9
	s_or_b64 s[4:5], vcc, s[4:5]
	s_andn2_b64 exec, exec, s[4:5]
	s_cbranch_execnz .LBB29_66
; %bb.67:
	s_or_b64 exec, exec, s[4:5]
.LBB29_68:
	s_or_b64 exec, exec, s[0:1]
	v_sub_u32_e32 v1, v1, v4
	v_sub_u32_e32 v9, v7, v8
	v_add_u32_e32 v3, v9, v1
	v_ashrrev_i32_e32 v1, 1, v3
	v_max_i32_e32 v1, v1, v9
	v_add3_u32 v8, v8, v1, 1
	v_min_i32_e32 v8, v8, v19
	v_sub_u32_e32 v8, v8, v7
	v_mov_b32_e32 v7, 0
	v_cmp_lt_i32_e32 vcc, 0, v8
	s_and_saveexec_b64 s[0:1], vcc
	s_cbranch_execz .LBB29_72
; %bb.69:
	v_mov_b32_e32 v7, 0
	s_mov_b64 s[4:5], 0
.LBB29_70:                              ; =>This Inner Loop Header: Depth=1
	v_add_u32_e32 v10, v7, v8
	v_lshrrev_b32_e32 v10, 1, v10
	v_lshl_add_u32 v11, v10, 2, v5
	ds_read_b32 v11, v11 offset:1024
	v_add_u32_e32 v12, 1, v10
	s_waitcnt lgkmcnt(0)
	v_cmp_lt_i32_e32 vcc, v6, v11
	v_cndmask_b32_e32 v7, v12, v7, vcc
	v_cndmask_b32_e32 v8, v8, v10, vcc
	v_cmp_ge_i32_e32 vcc, v7, v8
	s_or_b64 s[4:5], vcc, s[4:5]
	s_andn2_b64 exec, exec, s[4:5]
	s_cbranch_execnz .LBB29_70
; %bb.71:
	s_or_b64 exec, exec, s[4:5]
.LBB29_72:
	s_or_b64 exec, exec, s[0:1]
	v_add_u32_e32 v5, v7, v9
	s_waitcnt lgkmcnt(0)
	v_min_i32_e32 v6, v5, v1
	v_sub_u32_e32 v3, v3, v6
	v_add_u32_e32 v6, 1, v6
	v_cmp_eq_u32_e32 vcc, v3, v6
	v_cmp_lt_i32_e64 s[0:1], v1, v5
	s_and_b64 s[0:1], s[0:1], vcc
	v_cndmask_b32_e64 v5, 0, 1, s[0:1]
	v_add_u32_e32 v1, v3, v4
.LBB29_73:
	s_or_b64 exec, exec, s[2:3]
	v_add_u32_e32 v2, v5, v2
	v_sub_u32_e32 v2, v2, v1
	v_lshlrev_b32_e32 v3, 16, v18
	v_or_b32_e32 v3, v3, v19
	v_lshl_or_b32 v4, v1, 16, v2
	v_subrev_co_u32_e64 v5, s[0:1], 1, v0
	v_cndmask_b32_e64 v3, v4, v3, s[0:1]
	v_mov_b32_e32 v4, 0xff
	v_cndmask_b32_e64 v4, v5, v4, s[0:1]
	v_lshlrev_b32_e32 v4, 2, v4
	ds_write_b32 v4, v3 offset:18432
	v_add_u32_e32 v4, v2, v18
	v_lshlrev_b32_e32 v7, 2, v1
	s_waitcnt lgkmcnt(0)
	s_barrier
	v_lshlrev_b32_e32 v8, 2, v4
	ds_read_b32 v27, v7 offset:19456
	ds_read_b32 v5, v8 offset:19456
	ds_read_b32 v3, v25
	v_mov_b32_e32 v6, v1
	s_waitcnt lgkmcnt(2)
	v_mov_b32_e32 v26, v27
	s_waitcnt lgkmcnt(1)
	v_cmp_ge_i32_e32 vcc, v5, v27
	s_and_saveexec_b64 s[2:3], vcc
; %bb.74:
	v_add_u32_e32 v6, 0x4800, v7
	ds_read_b32 v26, v6 offset:1028
	v_add_u32_e32 v6, 1, v1
; %bb.75:
	s_or_b64 exec, exec, s[2:3]
	v_cmp_ge_i32_e32 vcc, v27, v5
	v_mov_b32_e32 v7, v5
	s_and_saveexec_b64 s[2:3], vcc
; %bb.76:
	v_add_u32_e32 v7, 0x4800, v8
	ds_read_b32 v7, v7 offset:1028
	v_add_u32_e32 v4, 1, v4
; %bb.77:
	s_or_b64 exec, exec, s[2:3]
	s_waitcnt lgkmcnt(0)
	v_cmp_ge_i32_e32 vcc, v7, v26
	v_mov_b32_e32 v28, v26
	v_mov_b32_e32 v8, v6
	s_and_saveexec_b64 s[2:3], vcc
; %bb.78:
	v_lshlrev_b32_e32 v8, 2, v6
	ds_read_b32 v28, v8 offset:19460
	v_add_u32_e32 v8, 1, v6
; %bb.79:
	s_or_b64 exec, exec, s[2:3]
	v_cmp_ge_i32_e32 vcc, v26, v7
	v_mov_b32_e32 v9, v7
	v_mov_b32_e32 v10, v4
	s_and_saveexec_b64 s[2:3], vcc
; %bb.80:
	v_lshlrev_b32_e32 v9, 2, v4
	ds_read_b32 v9, v9 offset:19460
	v_add_u32_e32 v10, 1, v4
; %bb.81:
	s_or_b64 exec, exec, s[2:3]
	s_waitcnt lgkmcnt(0)
	v_cmp_ge_i32_e32 vcc, v9, v28
	v_mov_b32_e32 v29, v28
	v_mov_b32_e32 v11, v8
	s_and_saveexec_b64 s[2:3], vcc
; %bb.82:
	v_lshlrev_b32_e32 v11, 2, v8
	ds_read_b32 v29, v11 offset:19460
	v_add_u32_e32 v11, 1, v8
; %bb.83:
	s_or_b64 exec, exec, s[2:3]
	v_cmp_ge_i32_e32 vcc, v28, v9
	v_mov_b32_e32 v12, v9
	v_mov_b32_e32 v13, v10
	s_and_saveexec_b64 s[2:3], vcc
; %bb.84:
	v_lshlrev_b32_e32 v12, 2, v10
	;; [unrolled: 21-line block ×14, first 2 shown]
	ds_read_b32 v73, v72 offset:19460
	v_add_u32_e32 v72, 1, v70
; %bb.133:
	s_or_b64 exec, exec, s[2:3]
	v_cmp_ge_i32_sdwa s[4:5], v71, sext(v3) src0_sel:DWORD src1_sel:WORD_1
	v_add_u32_sdwa v71, v3, v18 dst_sel:DWORD dst_unused:UNUSED_PAD src0_sel:WORD_0 src1_sel:DWORD
	v_cmp_ge_i32_e64 s[2:3], v72, v71
	s_waitcnt lgkmcnt(0)
	v_cmp_ne_u32_e32 vcc, v73, v41
	s_or_b64 s[2:3], s[4:5], s[2:3]
	v_mov_b32_e32 v72, 0x8000
	s_or_b64 s[2:3], vcc, s[2:3]
	v_cndmask_b32_e64 v72, v72, 0, s[2:3]
	v_cmp_ge_i32_sdwa s[4:5], v68, sext(v3) src0_sel:DWORD src1_sel:WORD_1
	v_cmp_ge_i32_e64 s[2:3], v70, v71
	v_cmp_ne_u32_e32 vcc, v69, v40
	s_or_b64 s[2:3], s[4:5], s[2:3]
	v_mov_b32_e32 v68, 0x4000
	s_or_b64 s[2:3], vcc, s[2:3]
	v_cndmask_b32_e64 v68, v68, 0, s[2:3]
	v_cmp_ge_i32_sdwa s[4:5], v65, sext(v3) src0_sel:DWORD src1_sel:WORD_1
	v_cmp_ge_i32_e64 s[2:3], v67, v71
	;; [unrolled: 7-line block ×9, first 2 shown]
	v_cmp_ne_u32_e32 vcc, v45, v32
	s_or_b64 s[2:3], s[4:5], s[2:3]
	s_or_b64 s[2:3], vcc, s[2:3]
	v_cndmask_b32_e64 v44, 64, 0, s[2:3]
	v_cmp_ge_i32_sdwa s[4:5], v17, sext(v3) src0_sel:DWORD src1_sel:WORD_1
	v_cmp_ge_i32_e64 s[2:3], v43, v71
	v_cmp_ne_u32_e32 vcc, v42, v31
	s_or_b64 s[2:3], s[4:5], s[2:3]
	s_or_b64 s[8:9], vcc, s[2:3]
	v_cmp_ge_i32_sdwa s[14:15], v14, sext(v3) src0_sel:DWORD src1_sel:WORD_1
	v_cmp_ge_i32_e64 s[2:3], v16, v71
	v_cmp_ne_u32_e32 vcc, v15, v30
	s_or_b64 s[2:3], s[14:15], s[2:3]
	s_or_b64 s[14:15], vcc, s[2:3]
	;; [unrolled: 5-line block ×5, first 2 shown]
	v_cmp_gt_i32_sdwa s[2:3], sext(v3), v1 src0_sel:WORD_1 src1_sel:DWORD
	v_cmp_gt_i32_sdwa s[20:21], v3, v2 src0_sel:WORD_0 src1_sel:DWORD
	v_cmp_eq_u32_e32 vcc, v5, v27
	s_and_b64 s[2:3], s[2:3], s[20:21]
	s_and_b64 s[20:21], s[2:3], vcc
	v_cndmask_b32_e64 v8, 4, 0, s[18:19]
	v_cndmask_b32_e64 v4, 2, 0, s[22:23]
	;; [unrolled: 1-line block ×5, first 2 shown]
	v_or3_b32 v1, v4, v1, v8
	v_cndmask_b32_e64 v17, 32, 0, s[8:9]
	v_or3_b32 v1, v1, v11, v14
	v_or3_b32 v47, v1, v17, v44
	v_or_b32_e32 v46, v48, v47
	v_or3_b32 v45, v50, v53, v46
	v_or3_b32 v44, v56, v59, v45
	;; [unrolled: 1-line block ×4, first 2 shown]
	s_mov_b64 s[4:5], -1
	v_bcnt_u32_b32 v9, v42, 0
	s_cmp_lg_u32 s6, 0
	v_mov_b32_e32 v10, 0
	s_barrier
	s_cbranch_scc0 .LBB29_187
; %bb.134:
	v_mbcnt_lo_u32_b32 v1, -1, 0
	v_mbcnt_hi_u32_b32 v16, -1, v1
	v_and_b32_e32 v6, 15, v16
	v_mov_b32_e32 v3, v9
	v_mov_b32_dpp v1, v9 row_shr:1 row_mask:0xf bank_mask:0xf
	v_mov_b32_dpp v7, v10 row_shr:1 row_mask:0xf bank_mask:0xf
	v_cmp_ne_u32_e32 vcc, 0, v6
	v_mov_b32_e32 v5, v9
	v_mov_b32_e32 v2, v10
	;; [unrolled: 1-line block ×3, first 2 shown]
	s_and_saveexec_b64 s[2:3], vcc
; %bb.135:
	v_add_co_u32_e32 v5, vcc, v1, v9
	v_addc_co_u32_e64 v2, s[4:5], 0, 0, vcc
	v_add_co_u32_e32 v1, vcc, 0, v5
	v_addc_co_u32_e32 v2, vcc, v7, v2, vcc
	v_mov_b32_e32 v4, v2
	v_mov_b32_e32 v3, v1
; %bb.136:
	s_or_b64 exec, exec, s[2:3]
	v_mov_b32_dpp v1, v5 row_shr:2 row_mask:0xf bank_mask:0xf
	v_mov_b32_dpp v7, v2 row_shr:2 row_mask:0xf bank_mask:0xf
	v_cmp_lt_u32_e32 vcc, 1, v6
	s_and_saveexec_b64 s[2:3], vcc
; %bb.137:
	v_add_co_u32_e32 v5, vcc, v3, v1
	v_addc_co_u32_e32 v2, vcc, 0, v4, vcc
	v_add_co_u32_e32 v1, vcc, 0, v5
	v_addc_co_u32_e32 v2, vcc, v7, v2, vcc
	v_mov_b32_e32 v4, v2
	v_mov_b32_e32 v3, v1
; %bb.138:
	s_or_b64 exec, exec, s[2:3]
	v_mov_b32_dpp v1, v5 row_shr:4 row_mask:0xf bank_mask:0xf
	v_mov_b32_dpp v7, v2 row_shr:4 row_mask:0xf bank_mask:0xf
	v_cmp_lt_u32_e32 vcc, 3, v6
	s_and_saveexec_b64 s[2:3], vcc
; %bb.139:
	v_add_co_u32_e32 v5, vcc, v3, v1
	v_addc_co_u32_e32 v2, vcc, 0, v4, vcc
	;; [unrolled: 13-line block ×3, first 2 shown]
	v_add_co_u32_e32 v1, vcc, 0, v5
	v_addc_co_u32_e32 v2, vcc, v7, v2, vcc
	v_mov_b32_e32 v4, v2
	v_mov_b32_e32 v3, v1
; %bb.142:
	s_or_b64 exec, exec, s[2:3]
	v_and_b32_e32 v7, 16, v16
	v_mov_b32_dpp v1, v5 row_bcast:15 row_mask:0xf bank_mask:0xf
	v_mov_b32_dpp v6, v2 row_bcast:15 row_mask:0xf bank_mask:0xf
	v_cmp_ne_u32_e32 vcc, 0, v7
	s_and_saveexec_b64 s[2:3], vcc
; %bb.143:
	v_add_co_u32_e32 v5, vcc, v3, v1
	v_addc_co_u32_e32 v2, vcc, 0, v4, vcc
	v_add_co_u32_e32 v1, vcc, 0, v5
	v_addc_co_u32_e32 v2, vcc, v6, v2, vcc
	v_mov_b32_e32 v4, v2
	v_mov_b32_e32 v3, v1
; %bb.144:
	s_or_b64 exec, exec, s[2:3]
	v_mov_b32_dpp v7, v5 row_bcast:31 row_mask:0xf bank_mask:0xf
	v_add_co_u32_e64 v7, s[2:3], v3, v7
	v_lshrrev_b32_e32 v6, 6, v0
	v_mov_b32_dpp v1, v2 row_bcast:31 row_mask:0xf bank_mask:0xf
	v_addc_co_u32_e64 v2, s[2:3], 0, v4, s[2:3]
	v_or_b32_e32 v8, 63, v0
	v_cmp_lt_u32_e32 vcc, 31, v16
	v_cmp_eq_u32_e64 s[2:3], v0, v8
	v_lshlrev_b32_e32 v6, 3, v6
	s_and_saveexec_b64 s[4:5], s[2:3]
; %bb.145:
	v_add_co_u32_e64 v8, s[2:3], 0, v7
	v_addc_co_u32_e64 v1, s[2:3], v1, v2, s[2:3]
	v_cndmask_b32_e32 v2, v4, v1, vcc
	v_cndmask_b32_e32 v1, v3, v8, vcc
	ds_write_b64 v6, v[1:2] offset:18432
; %bb.146:
	s_or_b64 exec, exec, s[4:5]
	v_cmp_gt_u32_e64 s[2:3], 4, v0
	s_waitcnt lgkmcnt(0)
	s_barrier
	s_and_saveexec_b64 s[4:5], s[2:3]
	s_cbranch_execz .LBB29_150
; %bb.147:
	v_lshlrev_b32_e32 v3, 3, v0
	ds_read_b64 v[1:2], v3 offset:18432
	v_and_b32_e32 v4, 3, v16
	v_or_b32_e32 v3, 0x4800, v3
	v_cmp_ne_u32_e64 s[2:3], 0, v4
	s_waitcnt lgkmcnt(0)
	v_mov_b32_dpp v12, v1 row_shr:1 row_mask:0xf bank_mask:0xf
	v_mov_b32_dpp v11, v2 row_shr:1 row_mask:0xf bank_mask:0xf
	v_mov_b32_e32 v8, v1
	s_and_saveexec_b64 s[24:25], s[2:3]
; %bb.148:
	v_add_co_u32_e64 v8, s[2:3], v1, v12
	v_addc_co_u32_e64 v2, s[2:3], 0, v2, s[2:3]
	v_add_co_u32_e64 v1, s[2:3], 0, v8
	v_addc_co_u32_e64 v2, s[2:3], v11, v2, s[2:3]
; %bb.149:
	s_or_b64 exec, exec, s[24:25]
	v_mov_b32_dpp v8, v8 row_shr:2 row_mask:0xf bank_mask:0xf
	v_add_co_u32_e64 v8, s[2:3], v1, v8
	v_addc_co_u32_e64 v12, s[2:3], 0, v2, s[2:3]
	v_mov_b32_dpp v11, v2 row_shr:2 row_mask:0xf bank_mask:0xf
	v_add_co_u32_e64 v8, s[2:3], 0, v8
	v_addc_co_u32_e64 v11, s[2:3], v12, v11, s[2:3]
	v_cmp_lt_u32_e64 s[2:3], 1, v4
	v_cndmask_b32_e64 v2, v2, v11, s[2:3]
	v_cndmask_b32_e64 v1, v1, v8, s[2:3]
	ds_write_b64 v3, v[1:2]
.LBB29_150:
	s_or_b64 exec, exec, s[4:5]
	v_cndmask_b32_e32 v1, v5, v7, vcc
	v_cmp_gt_u32_e32 vcc, 64, v0
	v_cmp_lt_u32_e64 s[2:3], 63, v0
	s_waitcnt lgkmcnt(0)
	s_barrier
                                        ; implicit-def: $vgpr11_vgpr12
	s_and_saveexec_b64 s[4:5], s[2:3]
	s_cbranch_execz .LBB29_152
; %bb.151:
	ds_read_b64 v[11:12], v6 offset:18424
	s_waitcnt lgkmcnt(0)
	v_add_u32_e32 v1, v1, v11
.LBB29_152:
	s_or_b64 exec, exec, s[4:5]
	v_subrev_co_u32_e64 v2, s[2:3], 1, v16
	v_and_b32_e32 v3, 64, v16
	v_cmp_lt_i32_e64 s[4:5], v2, v3
	v_cndmask_b32_e64 v2, v2, v16, s[4:5]
	v_lshlrev_b32_e32 v2, 2, v2
	ds_bpermute_b32 v48, v2, v1
	s_and_saveexec_b64 s[4:5], vcc
	s_cbranch_execz .LBB29_192
; %bb.153:
	v_mov_b32_e32 v4, 0
	ds_read_b64 v[1:2], v4 offset:18456
	s_and_saveexec_b64 s[24:25], s[2:3]
	s_cbranch_execz .LBB29_155
; %bb.154:
	s_add_i32 s26, s6, 64
	s_mov_b32 s27, 0
	s_lshl_b64 s[26:27], s[26:27], 4
	s_add_u32 s26, s12, s26
	s_addc_u32 s27, s13, s27
	v_mov_b32_e32 v5, s26
	v_mov_b32_e32 v3, 1
	;; [unrolled: 1-line block ×3, first 2 shown]
	s_waitcnt lgkmcnt(0)
	;;#ASMSTART
	global_store_dwordx4 v[5:6], v[1:4] off	
s_waitcnt vmcnt(0)
	;;#ASMEND
.LBB29_155:
	s_or_b64 exec, exec, s[24:25]
	v_xad_u32 v12, v16, -1, s6
	v_add_u32_e32 v3, 64, v12
	v_lshlrev_b64 v[5:6], 4, v[3:4]
	v_mov_b32_e32 v3, s13
	v_add_co_u32_e32 v13, vcc, s12, v5
	v_addc_co_u32_e32 v14, vcc, v3, v6, vcc
	;;#ASMSTART
	global_load_dwordx4 v[5:8], v[13:14] off glc	
s_waitcnt vmcnt(0)
	;;#ASMEND
	v_cmp_eq_u16_sdwa s[26:27], v7, v4 src0_sel:BYTE_0 src1_sel:DWORD
	s_and_saveexec_b64 s[24:25], s[26:27]
	s_cbranch_execz .LBB29_159
; %bb.156:
	s_mov_b64 s[26:27], 0
	v_mov_b32_e32 v3, 0
.LBB29_157:                             ; =>This Inner Loop Header: Depth=1
	;;#ASMSTART
	global_load_dwordx4 v[5:8], v[13:14] off glc	
s_waitcnt vmcnt(0)
	;;#ASMEND
	v_cmp_ne_u16_sdwa s[28:29], v7, v3 src0_sel:BYTE_0 src1_sel:DWORD
	s_or_b64 s[26:27], s[28:29], s[26:27]
	s_andn2_b64 exec, exec, s[26:27]
	s_cbranch_execnz .LBB29_157
; %bb.158:
	s_or_b64 exec, exec, s[26:27]
.LBB29_159:
	s_or_b64 exec, exec, s[24:25]
	v_and_b32_e32 v49, 63, v16
	v_mov_b32_e32 v3, 2
	v_lshlrev_b64 v[14:15], v16, -1
	v_cmp_ne_u32_e32 vcc, 63, v49
	v_cmp_eq_u16_sdwa s[24:25], v7, v3 src0_sel:BYTE_0 src1_sel:DWORD
	v_addc_co_u32_e32 v8, vcc, 0, v16, vcc
	v_and_b32_e32 v3, s25, v15
	v_lshlrev_b32_e32 v50, 2, v8
	v_or_b32_e32 v3, 0x80000000, v3
	ds_bpermute_b32 v13, v50, v5
	ds_bpermute_b32 v8, v50, v6
	v_and_b32_e32 v4, s24, v14
	v_ffbl_b32_e32 v3, v3
	v_add_u32_e32 v3, 32, v3
	v_ffbl_b32_e32 v4, v4
	v_min_u32_e32 v3, v4, v3
	v_cmp_lt_u32_e32 vcc, v49, v3
	v_mov_b32_e32 v4, v5
	s_and_saveexec_b64 s[24:25], vcc
	s_cbranch_execz .LBB29_161
; %bb.160:
	s_waitcnt lgkmcnt(1)
	v_add_co_u32_e32 v4, vcc, v5, v13
	v_addc_co_u32_e32 v6, vcc, 0, v6, vcc
	v_add_co_u32_e32 v5, vcc, 0, v4
	s_waitcnt lgkmcnt(0)
	v_addc_co_u32_e32 v6, vcc, v8, v6, vcc
.LBB29_161:
	s_or_b64 exec, exec, s[24:25]
	v_cmp_gt_u32_e32 vcc, 62, v49
	s_waitcnt lgkmcnt(0)
	v_cndmask_b32_e64 v8, 0, 2, vcc
	v_add_lshl_u32 v51, v8, v16, 2
	ds_bpermute_b32 v13, v51, v4
	ds_bpermute_b32 v8, v51, v6
	v_add_u32_e32 v52, 2, v49
	v_cmp_le_u32_e32 vcc, v52, v3
	s_and_saveexec_b64 s[24:25], vcc
	s_cbranch_execz .LBB29_163
; %bb.162:
	s_waitcnt lgkmcnt(1)
	v_add_co_u32_e32 v4, vcc, v5, v13
	v_addc_co_u32_e32 v6, vcc, 0, v6, vcc
	v_add_co_u32_e32 v5, vcc, 0, v4
	s_waitcnt lgkmcnt(0)
	v_addc_co_u32_e32 v6, vcc, v8, v6, vcc
.LBB29_163:
	s_or_b64 exec, exec, s[24:25]
	v_cmp_gt_u32_e32 vcc, 60, v49
	s_waitcnt lgkmcnt(0)
	v_cndmask_b32_e64 v8, 0, 4, vcc
	v_add_lshl_u32 v53, v8, v16, 2
	ds_bpermute_b32 v13, v53, v4
	ds_bpermute_b32 v8, v53, v6
	v_add_u32_e32 v54, 4, v49
	v_cmp_le_u32_e32 vcc, v54, v3
	;; [unrolled: 19-line block ×4, first 2 shown]
	s_and_saveexec_b64 s[24:25], vcc
	s_cbranch_execz .LBB29_169
; %bb.168:
	s_waitcnt lgkmcnt(1)
	v_add_co_u32_e32 v4, vcc, v5, v13
	v_addc_co_u32_e32 v6, vcc, 0, v6, vcc
	v_add_co_u32_e32 v5, vcc, 0, v4
	s_waitcnt lgkmcnt(0)
	v_addc_co_u32_e32 v6, vcc, v8, v6, vcc
.LBB29_169:
	s_or_b64 exec, exec, s[24:25]
	s_waitcnt lgkmcnt(0)
	v_mov_b32_e32 v8, 0x80
	v_lshl_or_b32 v59, v16, 2, v8
	ds_bpermute_b32 v4, v59, v4
	ds_bpermute_b32 v8, v59, v6
	v_add_u32_e32 v60, 32, v49
	v_mov_b32_e32 v13, 0
	v_mov_b32_e32 v61, 2
	s_waitcnt lgkmcnt(1)
	v_add_co_u32_e32 v4, vcc, v5, v4
	v_addc_co_u32_e32 v16, vcc, 0, v6, vcc
	v_add_co_u32_e32 v4, vcc, 0, v4
	s_waitcnt lgkmcnt(0)
	v_addc_co_u32_e32 v8, vcc, v16, v8, vcc
	v_cmp_gt_u32_e32 vcc, v60, v3
	v_cndmask_b32_e32 v6, v8, v6, vcc
	v_cndmask_b32_e32 v5, v4, v5, vcc
	s_branch .LBB29_172
.LBB29_170:                             ;   in Loop: Header=BB29_172 Depth=1
	s_or_b64 exec, exec, s[24:25]
	ds_bpermute_b32 v16, v59, v16
	s_waitcnt lgkmcnt(1)
	ds_bpermute_b32 v17, v59, v6
	v_subrev_u32_e32 v12, 64, v12
	s_mov_b64 s[24:25], 0
	s_waitcnt lgkmcnt(1)
	v_add_co_u32_e32 v16, vcc, v5, v16
	v_addc_co_u32_e32 v62, vcc, 0, v6, vcc
	v_add_co_u32_e32 v16, vcc, 0, v16
	s_waitcnt lgkmcnt(0)
	v_addc_co_u32_e32 v17, vcc, v62, v17, vcc
	v_cmp_gt_u32_e32 vcc, v60, v8
	v_cndmask_b32_e32 v5, v16, v5, vcc
	v_cndmask_b32_e32 v6, v17, v6, vcc
	v_add_co_u32_e32 v5, vcc, v5, v3
	v_addc_co_u32_e32 v6, vcc, v6, v4, vcc
.LBB29_171:                             ;   in Loop: Header=BB29_172 Depth=1
	s_and_b64 vcc, exec, s[24:25]
	s_cbranch_vccnz .LBB29_188
.LBB29_172:                             ; =>This Loop Header: Depth=1
                                        ;     Child Loop BB29_175 Depth 2
	v_mov_b32_e32 v3, v5
	v_cmp_ne_u16_sdwa s[24:25], v7, v61 src0_sel:BYTE_0 src1_sel:DWORD
	v_mov_b32_e32 v4, v6
	s_cmp_lg_u64 s[24:25], exec
	s_mov_b64 s[24:25], -1
                                        ; implicit-def: $vgpr5_vgpr6
                                        ; implicit-def: $vgpr7
	s_cbranch_scc1 .LBB29_171
; %bb.173:                              ;   in Loop: Header=BB29_172 Depth=1
	v_lshlrev_b64 v[5:6], 4, v[12:13]
	v_mov_b32_e32 v7, s13
	v_add_co_u32_e32 v16, vcc, s12, v5
	v_addc_co_u32_e32 v17, vcc, v7, v6, vcc
	;;#ASMSTART
	global_load_dwordx4 v[5:8], v[16:17] off glc	
s_waitcnt vmcnt(0)
	;;#ASMEND
	v_cmp_eq_u16_sdwa s[26:27], v7, v13 src0_sel:BYTE_0 src1_sel:DWORD
	s_and_saveexec_b64 s[24:25], s[26:27]
	s_cbranch_execz .LBB29_177
; %bb.174:                              ;   in Loop: Header=BB29_172 Depth=1
	s_mov_b64 s[26:27], 0
.LBB29_175:                             ;   Parent Loop BB29_172 Depth=1
                                        ; =>  This Inner Loop Header: Depth=2
	;;#ASMSTART
	global_load_dwordx4 v[5:8], v[16:17] off glc	
s_waitcnt vmcnt(0)
	;;#ASMEND
	v_cmp_ne_u16_sdwa s[28:29], v7, v13 src0_sel:BYTE_0 src1_sel:DWORD
	s_or_b64 s[26:27], s[28:29], s[26:27]
	s_andn2_b64 exec, exec, s[26:27]
	s_cbranch_execnz .LBB29_175
; %bb.176:                              ;   in Loop: Header=BB29_172 Depth=1
	s_or_b64 exec, exec, s[26:27]
.LBB29_177:                             ;   in Loop: Header=BB29_172 Depth=1
	s_or_b64 exec, exec, s[24:25]
	v_cmp_eq_u16_sdwa s[24:25], v7, v61 src0_sel:BYTE_0 src1_sel:DWORD
	v_and_b32_e32 v8, s25, v15
	v_or_b32_e32 v8, 0x80000000, v8
	ds_bpermute_b32 v62, v50, v5
	ds_bpermute_b32 v17, v50, v6
	v_and_b32_e32 v16, s24, v14
	v_ffbl_b32_e32 v8, v8
	v_add_u32_e32 v8, 32, v8
	v_ffbl_b32_e32 v16, v16
	v_min_u32_e32 v8, v16, v8
	v_cmp_lt_u32_e32 vcc, v49, v8
	v_mov_b32_e32 v16, v5
	s_and_saveexec_b64 s[24:25], vcc
	s_cbranch_execz .LBB29_179
; %bb.178:                              ;   in Loop: Header=BB29_172 Depth=1
	s_waitcnt lgkmcnt(1)
	v_add_co_u32_e32 v16, vcc, v5, v62
	v_addc_co_u32_e32 v6, vcc, 0, v6, vcc
	v_add_co_u32_e32 v5, vcc, 0, v16
	s_waitcnt lgkmcnt(0)
	v_addc_co_u32_e32 v6, vcc, v17, v6, vcc
.LBB29_179:                             ;   in Loop: Header=BB29_172 Depth=1
	s_or_b64 exec, exec, s[24:25]
	s_waitcnt lgkmcnt(1)
	ds_bpermute_b32 v62, v51, v16
	s_waitcnt lgkmcnt(1)
	ds_bpermute_b32 v17, v51, v6
	v_cmp_le_u32_e32 vcc, v52, v8
	s_and_saveexec_b64 s[24:25], vcc
	s_cbranch_execz .LBB29_181
; %bb.180:                              ;   in Loop: Header=BB29_172 Depth=1
	s_waitcnt lgkmcnt(1)
	v_add_co_u32_e32 v16, vcc, v5, v62
	v_addc_co_u32_e32 v6, vcc, 0, v6, vcc
	v_add_co_u32_e32 v5, vcc, 0, v16
	s_waitcnt lgkmcnt(0)
	v_addc_co_u32_e32 v6, vcc, v17, v6, vcc
.LBB29_181:                             ;   in Loop: Header=BB29_172 Depth=1
	s_or_b64 exec, exec, s[24:25]
	s_waitcnt lgkmcnt(1)
	ds_bpermute_b32 v62, v53, v16
	s_waitcnt lgkmcnt(1)
	ds_bpermute_b32 v17, v53, v6
	v_cmp_le_u32_e32 vcc, v54, v8
	;; [unrolled: 16-line block ×4, first 2 shown]
	s_and_saveexec_b64 s[24:25], vcc
	s_cbranch_execz .LBB29_170
; %bb.186:                              ;   in Loop: Header=BB29_172 Depth=1
	s_waitcnt lgkmcnt(1)
	v_add_co_u32_e32 v16, vcc, v5, v62
	v_addc_co_u32_e32 v6, vcc, 0, v6, vcc
	v_add_co_u32_e32 v5, vcc, 0, v16
	s_waitcnt lgkmcnt(0)
	v_addc_co_u32_e32 v6, vcc, v17, v6, vcc
	s_branch .LBB29_170
.LBB29_187:
                                        ; implicit-def: $vgpr1_vgpr2
                                        ; implicit-def: $vgpr5_vgpr6
	s_movk_i32 s7, 0x4820
	s_and_b64 vcc, exec, s[4:5]
	s_cbranch_vccnz .LBB29_193
	s_branch .LBB29_212
.LBB29_188:
	s_and_saveexec_b64 s[24:25], s[2:3]
	s_cbranch_execz .LBB29_190
; %bb.189:
	s_add_i32 s26, s6, 64
	s_mov_b32 s27, 0
	s_lshl_b64 s[26:27], s[26:27], 4
	s_add_u32 s26, s12, s26
	v_add_co_u32_e32 v5, vcc, v3, v1
	s_addc_u32 s27, s13, s27
	v_mov_b32_e32 v12, s26
	v_addc_co_u32_e32 v6, vcc, v4, v2, vcc
	v_mov_b32_e32 v7, 2
	v_mov_b32_e32 v8, 0
	;; [unrolled: 1-line block ×3, first 2 shown]
	;;#ASMSTART
	global_store_dwordx4 v[12:13], v[5:8] off	
s_waitcnt vmcnt(0)
	;;#ASMEND
	ds_write_b128 v8, v[1:4] offset:18464
.LBB29_190:
	s_or_b64 exec, exec, s[24:25]
	s_and_b64 exec, exec, s[0:1]
; %bb.191:
	v_mov_b32_e32 v1, 0
	ds_write_b64 v1, v[3:4] offset:18456
.LBB29_192:
	s_or_b64 exec, exec, s[4:5]
	v_mov_b32_e32 v1, 0
	s_waitcnt lgkmcnt(0)
	s_barrier
	ds_read_b64 v[3:4], v1 offset:18456
	s_waitcnt lgkmcnt(0)
	s_barrier
	ds_read_b64 v[1:2], v1 offset:18472
	v_cndmask_b32_e64 v5, v48, v11, s[2:3]
	v_cndmask_b32_e64 v4, v5, 0, s[0:1]
	v_add_co_u32_e32 v5, vcc, v3, v4
	s_movk_i32 s7, 0x4820
	s_branch .LBB29_212
.LBB29_193:
	s_waitcnt lgkmcnt(0)
	v_mbcnt_lo_u32_b32 v1, -1, 0
	v_mbcnt_hi_u32_b32 v5, -1, v1
	v_mov_b32_e32 v2, 0
	v_and_b32_e32 v6, 15, v5
	v_mov_b32_e32 v3, v9
	v_mov_b32_dpp v1, v9 row_shr:1 row_mask:0xf bank_mask:0xf
	v_mov_b32_dpp v7, v2 row_shr:1 row_mask:0xf bank_mask:0xf
	v_cmp_ne_u32_e32 vcc, 0, v6
	v_mov_b32_e32 v4, v10
	s_and_saveexec_b64 s[2:3], vcc
; %bb.194:
	v_add_co_u32_e32 v9, vcc, v1, v9
	v_addc_co_u32_e64 v2, s[4:5], 0, 0, vcc
	v_add_co_u32_e32 v1, vcc, 0, v9
	v_addc_co_u32_e32 v2, vcc, v7, v2, vcc
	v_mov_b32_e32 v4, v2
	v_mov_b32_e32 v3, v1
; %bb.195:
	s_or_b64 exec, exec, s[2:3]
	v_mov_b32_dpp v1, v9 row_shr:2 row_mask:0xf bank_mask:0xf
	v_mov_b32_dpp v7, v2 row_shr:2 row_mask:0xf bank_mask:0xf
	v_cmp_lt_u32_e32 vcc, 1, v6
	s_and_saveexec_b64 s[2:3], vcc
; %bb.196:
	v_add_co_u32_e32 v9, vcc, v3, v1
	v_addc_co_u32_e32 v2, vcc, 0, v4, vcc
	v_add_co_u32_e32 v1, vcc, 0, v9
	v_addc_co_u32_e32 v2, vcc, v7, v2, vcc
	v_mov_b32_e32 v4, v2
	v_mov_b32_e32 v3, v1
; %bb.197:
	s_or_b64 exec, exec, s[2:3]
	v_mov_b32_dpp v1, v9 row_shr:4 row_mask:0xf bank_mask:0xf
	v_mov_b32_dpp v7, v2 row_shr:4 row_mask:0xf bank_mask:0xf
	v_cmp_lt_u32_e32 vcc, 3, v6
	s_and_saveexec_b64 s[2:3], vcc
; %bb.198:
	v_add_co_u32_e32 v9, vcc, v3, v1
	v_addc_co_u32_e32 v2, vcc, 0, v4, vcc
	;; [unrolled: 13-line block ×3, first 2 shown]
	v_add_co_u32_e32 v1, vcc, 0, v9
	v_addc_co_u32_e32 v2, vcc, v7, v2, vcc
	v_mov_b32_e32 v4, v2
	v_mov_b32_e32 v3, v1
; %bb.201:
	s_or_b64 exec, exec, s[2:3]
	v_and_b32_e32 v7, 16, v5
	v_mov_b32_dpp v1, v9 row_bcast:15 row_mask:0xf bank_mask:0xf
	v_mov_b32_dpp v6, v2 row_bcast:15 row_mask:0xf bank_mask:0xf
	v_cmp_ne_u32_e32 vcc, 0, v7
	s_and_saveexec_b64 s[2:3], vcc
; %bb.202:
	v_add_co_u32_e32 v9, vcc, v3, v1
	v_addc_co_u32_e32 v2, vcc, 0, v4, vcc
	v_add_co_u32_e32 v1, vcc, 0, v9
	v_addc_co_u32_e32 v2, vcc, v6, v2, vcc
	v_mov_b32_e32 v4, v2
	v_mov_b32_e32 v3, v1
; %bb.203:
	s_or_b64 exec, exec, s[2:3]
	v_mov_b32_dpp v6, v9 row_bcast:31 row_mask:0xf bank_mask:0xf
	v_add_co_u32_e64 v6, s[2:3], v3, v6
	v_mov_b32_dpp v1, v2 row_bcast:31 row_mask:0xf bank_mask:0xf
	v_addc_co_u32_e64 v2, s[2:3], 0, v4, s[2:3]
	v_lshrrev_b32_e32 v7, 6, v0
	v_or_b32_e32 v8, 63, v0
	v_cmp_lt_u32_e32 vcc, 31, v5
	v_cmp_eq_u32_e64 s[2:3], v0, v8
	v_lshlrev_b32_e32 v7, 3, v7
	s_and_saveexec_b64 s[4:5], s[2:3]
; %bb.204:
	v_add_co_u32_e64 v8, s[2:3], 0, v6
	v_addc_co_u32_e64 v1, s[2:3], v1, v2, s[2:3]
	v_cndmask_b32_e32 v2, v4, v1, vcc
	v_cndmask_b32_e32 v1, v3, v8, vcc
	ds_write_b64 v7, v[1:2] offset:18432
; %bb.205:
	s_or_b64 exec, exec, s[4:5]
	v_cmp_gt_u32_e64 s[2:3], 4, v0
	s_waitcnt lgkmcnt(0)
	s_barrier
	s_and_saveexec_b64 s[4:5], s[2:3]
	s_cbranch_execz .LBB29_209
; %bb.206:
	v_add_u32_e32 v3, v25, v24
	ds_read_b64 v[1:2], v3
	v_and_b32_e32 v4, 3, v5
	v_cmp_ne_u32_e64 s[2:3], 0, v4
	s_waitcnt lgkmcnt(0)
	v_mov_b32_dpp v11, v1 row_shr:1 row_mask:0xf bank_mask:0xf
	v_mov_b32_dpp v10, v2 row_shr:1 row_mask:0xf bank_mask:0xf
	v_mov_b32_e32 v8, v1
	s_and_saveexec_b64 s[24:25], s[2:3]
; %bb.207:
	v_add_co_u32_e64 v8, s[2:3], v1, v11
	v_addc_co_u32_e64 v2, s[2:3], 0, v2, s[2:3]
	v_add_co_u32_e64 v1, s[2:3], 0, v8
	v_addc_co_u32_e64 v2, s[2:3], v10, v2, s[2:3]
; %bb.208:
	s_or_b64 exec, exec, s[24:25]
	v_mov_b32_dpp v8, v8 row_shr:2 row_mask:0xf bank_mask:0xf
	v_add_co_u32_e64 v8, s[2:3], v1, v8
	v_addc_co_u32_e64 v11, s[2:3], 0, v2, s[2:3]
	v_mov_b32_dpp v10, v2 row_shr:2 row_mask:0xf bank_mask:0xf
	v_add_co_u32_e64 v8, s[2:3], 0, v8
	v_addc_co_u32_e64 v10, s[2:3], v11, v10, s[2:3]
	v_cmp_lt_u32_e64 s[2:3], 1, v4
	v_cndmask_b32_e64 v2, v2, v10, s[2:3]
	v_cndmask_b32_e64 v1, v1, v8, s[2:3]
	ds_write_b64 v3, v[1:2]
.LBB29_209:
	s_or_b64 exec, exec, s[4:5]
	v_mov_b32_e32 v1, 0
	v_mov_b32_e32 v2, 0
	v_mov_b32_e32 v3, 0
	v_cmp_lt_u32_e64 s[2:3], 63, v0
	s_waitcnt lgkmcnt(0)
	s_barrier
	v_mov_b32_e32 v4, 0
	s_and_saveexec_b64 s[4:5], s[2:3]
; %bb.210:
	ds_read_b64 v[3:4], v7 offset:18424
; %bb.211:
	s_or_b64 exec, exec, s[4:5]
	s_waitcnt lgkmcnt(0)
	v_cndmask_b32_e32 v4, v9, v6, vcc
	v_subrev_co_u32_e32 v6, vcc, 1, v5
	v_and_b32_e32 v7, 64, v5
	v_cmp_lt_i32_e64 s[2:3], v6, v7
	v_cndmask_b32_e64 v5, v6, v5, s[2:3]
	v_add_u32_e32 v4, v4, v3
	v_lshlrev_b32_e32 v5, 2, v5
	ds_bpermute_b32 v4, v5, v4
	s_movk_i32 s7, 0x4818
	s_waitcnt lgkmcnt(0)
	v_cndmask_b32_e32 v5, v4, v3, vcc
.LBB29_212:
	v_mov_b32_e32 v3, s7
	ds_read_b64 v[3:4], v3
	s_xor_b64 s[2:3], s[8:9], -1
	s_xor_b64 s[4:5], s[14:15], -1
	s_xor_b64 s[8:9], s[16:17], -1
	s_xor_b64 s[14:15], s[18:19], -1
	s_xor_b64 s[16:17], s[22:23], -1
	s_waitcnt lgkmcnt(1)
	v_sub_u32_e32 v5, v5, v1
	s_waitcnt lgkmcnt(0)
	s_barrier
	s_and_saveexec_b64 s[18:19], s[20:21]
	s_cbranch_execnz .LBB29_254
; %bb.213:
	s_or_b64 exec, exec, s[18:19]
	s_and_saveexec_b64 s[18:19], s[16:17]
	s_cbranch_execnz .LBB29_255
.LBB29_214:
	s_or_b64 exec, exec, s[18:19]
	s_and_saveexec_b64 s[16:17], s[14:15]
	s_cbranch_execnz .LBB29_256
.LBB29_215:
	s_or_b64 exec, exec, s[16:17]
	s_and_saveexec_b64 s[14:15], s[8:9]
	s_cbranch_execnz .LBB29_257
.LBB29_216:
	s_or_b64 exec, exec, s[14:15]
	s_and_saveexec_b64 s[8:9], s[4:5]
	s_cbranch_execnz .LBB29_258
.LBB29_217:
	s_or_b64 exec, exec, s[8:9]
	s_and_saveexec_b64 s[4:5], s[2:3]
.LBB29_218:
	v_lshlrev_b32_e32 v6, 2, v5
	v_add_u32_e32 v5, 1, v5
	ds_write_b32 v6, v31 offset:19456
.LBB29_219:
	s_or_b64 exec, exec, s[4:5]
	v_and_b32_e32 v6, 64, v47
	v_cmp_ne_u32_e32 vcc, 0, v6
	s_and_saveexec_b64 s[2:3], vcc
; %bb.220:
	v_lshlrev_b32_e32 v6, 2, v5
	v_add_u32_e32 v5, 1, v5
	ds_write_b32 v6, v32 offset:19456
; %bb.221:
	s_or_b64 exec, exec, s[2:3]
	v_and_b32_e32 v6, 0x80, v46
	v_cmp_ne_u32_e32 vcc, 0, v6
	s_and_saveexec_b64 s[2:3], vcc
; %bb.222:
	v_lshlrev_b32_e32 v6, 2, v5
	v_add_u32_e32 v5, 1, v5
	ds_write_b32 v6, v33 offset:19456
; %bb.223:
	;; [unrolled: 9-line block ×9, first 2 shown]
	s_or_b64 exec, exec, s[2:3]
	v_and_b32_e32 v6, 0x8000, v42
	v_cmp_ne_u32_e32 vcc, 0, v6
	s_and_saveexec_b64 s[2:3], vcc
; %bb.238:
	v_lshlrev_b32_e32 v5, 2, v5
	ds_write_b32 v5, v41 offset:19456
; %bb.239:
	s_or_b64 exec, exec, s[2:3]
	s_waitcnt lgkmcnt(0)
	s_barrier
	s_and_saveexec_b64 s[2:3], s[0:1]
	s_cbranch_execz .LBB29_241
; %bb.240:
	v_add_co_u32_e32 v1, vcc, v3, v1
	v_mov_b32_e32 v5, 0
	v_addc_co_u32_e32 v2, vcc, v4, v2, vcc
	global_store_dwordx2 v5, v[1:2], s[10:11]
.LBB29_241:
	s_or_b64 exec, exec, s[2:3]
	s_branch .LBB29_6
.LBB29_242:
	v_lshlrev_b32_e32 v24, 2, v0
	v_mov_b32_e32 v2, 0
	v_sub_u32_e32 v1, v0, v18
	v_add_co_u32_e32 v5, vcc, v22, v24
	v_lshlrev_b64 v[6:7], 2, v[1:2]
	v_addc_co_u32_e32 v4, vcc, 0, v23, vcc
	v_add_co_u32_e32 v1, vcc, v20, v6
	v_addc_co_u32_e32 v3, vcc, v21, v7, vcc
	v_cmp_lt_i32_e32 vcc, v0, v18
	v_or_b32_e32 v8, 0x100, v0
	v_cndmask_b32_e32 v7, v3, v4, vcc
	v_cndmask_b32_e32 v6, v1, v5, vcc
	s_movk_i32 s0, 0x400
	v_sub_u32_e32 v1, v8, v18
	global_load_dword v3, v[6:7], off
	v_add_co_u32_e32 v9, vcc, s0, v5
	v_lshlrev_b64 v[6:7], 2, v[1:2]
	v_addc_co_u32_e32 v10, vcc, 0, v4, vcc
	v_add_co_u32_e32 v1, vcc, v20, v6
	v_addc_co_u32_e32 v6, vcc, v21, v7, vcc
	v_cmp_lt_i32_e32 vcc, v8, v18
	v_cndmask_b32_e32 v7, v6, v10, vcc
	v_cndmask_b32_e32 v6, v1, v9, vcc
	v_or_b32_e32 v9, 0x200, v0
	s_movk_i32 s0, 0x800
	v_sub_u32_e32 v1, v9, v18
	global_load_dword v6, v[6:7], off
	v_add_co_u32_e32 v10, vcc, s0, v5
	v_lshlrev_b64 v[7:8], 2, v[1:2]
	v_addc_co_u32_e32 v11, vcc, 0, v4, vcc
	v_add_co_u32_e32 v1, vcc, v20, v7
	v_addc_co_u32_e32 v7, vcc, v21, v8, vcc
	v_cmp_lt_i32_e32 vcc, v9, v18
	v_cndmask_b32_e32 v8, v7, v11, vcc
	v_cndmask_b32_e32 v7, v1, v10, vcc
	v_or_b32_e32 v10, 0x300, v0
	s_movk_i32 s0, 0xc00
	v_sub_u32_e32 v1, v10, v18
	global_load_dword v7, v[7:8], off
	v_add_co_u32_e32 v11, vcc, s0, v5
	v_lshlrev_b64 v[8:9], 2, v[1:2]
	v_addc_co_u32_e32 v12, vcc, 0, v4, vcc
	v_add_co_u32_e32 v1, vcc, v20, v8
	v_addc_co_u32_e32 v8, vcc, v21, v9, vcc
	v_cmp_lt_i32_e32 vcc, v10, v18
	v_cndmask_b32_e32 v9, v8, v12, vcc
	v_cndmask_b32_e32 v8, v1, v11, vcc
	v_or_b32_e32 v11, 0x400, v0
	v_lshlrev_b32_e32 v1, 2, v11
	v_add_co_u32_e32 v12, vcc, v22, v1
	v_sub_u32_e32 v1, v11, v18
	global_load_dword v8, v[8:9], off
	v_lshlrev_b64 v[9:10], 2, v[1:2]
	v_addc_co_u32_e32 v13, vcc, 0, v23, vcc
	v_add_co_u32_e32 v1, vcc, v20, v9
	v_addc_co_u32_e32 v9, vcc, v21, v10, vcc
	v_cmp_lt_i32_e32 vcc, v11, v18
	v_cndmask_b32_e32 v10, v9, v13, vcc
	v_cndmask_b32_e32 v9, v1, v12, vcc
	v_or_b32_e32 v12, 0x500, v0
	s_movk_i32 s0, 0x1400
	v_sub_u32_e32 v1, v12, v18
	global_load_dword v9, v[9:10], off
	v_add_co_u32_e32 v13, vcc, s0, v5
	v_lshlrev_b64 v[10:11], 2, v[1:2]
	v_addc_co_u32_e32 v14, vcc, 0, v4, vcc
	v_add_co_u32_e32 v1, vcc, v20, v10
	v_addc_co_u32_e32 v10, vcc, v21, v11, vcc
	v_cmp_lt_i32_e32 vcc, v12, v18
	v_cndmask_b32_e32 v11, v10, v14, vcc
	v_cndmask_b32_e32 v10, v1, v13, vcc
	v_or_b32_e32 v13, 0x600, v0
	s_movk_i32 s0, 0x1800
	v_sub_u32_e32 v1, v13, v18
	global_load_dword v10, v[10:11], off
	v_add_co_u32_e32 v14, vcc, s0, v5
	;; [unrolled: 12-line block ×3, first 2 shown]
	v_lshlrev_b64 v[12:13], 2, v[1:2]
	v_addc_co_u32_e32 v16, vcc, 0, v4, vcc
	v_add_co_u32_e32 v1, vcc, v20, v12
	v_addc_co_u32_e32 v12, vcc, v21, v13, vcc
	v_cmp_lt_i32_e32 vcc, v14, v18
	v_cndmask_b32_e32 v13, v12, v16, vcc
	v_cndmask_b32_e32 v12, v1, v15, vcc
	v_or_b32_e32 v15, 0x800, v0
	v_lshlrev_b32_e32 v1, 2, v15
	v_add_co_u32_e32 v16, vcc, v22, v1
	v_sub_u32_e32 v1, v15, v18
	global_load_dword v12, v[12:13], off
	v_lshlrev_b64 v[13:14], 2, v[1:2]
	v_addc_co_u32_e32 v17, vcc, 0, v23, vcc
	v_add_co_u32_e32 v1, vcc, v20, v13
	v_addc_co_u32_e32 v13, vcc, v21, v14, vcc
	v_cmp_lt_i32_e32 vcc, v15, v18
	v_cndmask_b32_e32 v14, v13, v17, vcc
	v_cndmask_b32_e32 v13, v1, v16, vcc
	v_or_b32_e32 v16, 0x900, v0
	s_movk_i32 s0, 0x2400
	v_sub_u32_e32 v1, v16, v18
	global_load_dword v13, v[13:14], off
	v_add_co_u32_e32 v17, vcc, s0, v5
	v_lshlrev_b64 v[14:15], 2, v[1:2]
	v_addc_co_u32_e32 v25, vcc, 0, v4, vcc
	v_add_co_u32_e32 v1, vcc, v20, v14
	v_addc_co_u32_e32 v14, vcc, v21, v15, vcc
	v_cmp_lt_i32_e32 vcc, v16, v18
	v_cndmask_b32_e32 v15, v14, v25, vcc
	v_cndmask_b32_e32 v14, v1, v17, vcc
	v_or_b32_e32 v17, 0xa00, v0
	s_movk_i32 s0, 0x2800
	v_sub_u32_e32 v1, v17, v18
	global_load_dword v14, v[14:15], off
	v_add_co_u32_e32 v25, vcc, s0, v5
	;; [unrolled: 12-line block ×3, first 2 shown]
	v_lshlrev_b64 v[16:17], 2, v[1:2]
	v_addc_co_u32_e32 v27, vcc, 0, v4, vcc
	v_add_co_u32_e32 v1, vcc, v20, v16
	v_addc_co_u32_e32 v16, vcc, v21, v17, vcc
	v_cmp_lt_i32_e32 vcc, v25, v18
	v_cndmask_b32_e32 v17, v16, v27, vcc
	v_cndmask_b32_e32 v16, v1, v26, vcc
	global_load_dword v16, v[16:17], off
	v_or_b32_e32 v17, 0xc00, v0
	v_lshlrev_b32_e32 v1, 2, v17
	v_add_co_u32_e32 v25, vcc, v22, v1
	v_sub_u32_e32 v1, v17, v18
	v_addc_co_u32_e32 v26, vcc, 0, v23, vcc
	v_lshlrev_b64 v[22:23], 2, v[1:2]
	s_movk_i32 s0, 0x3400
	v_add_co_u32_e32 v1, vcc, v20, v22
	v_addc_co_u32_e32 v22, vcc, v21, v23, vcc
	v_cmp_lt_i32_e32 vcc, v17, v18
	v_cndmask_b32_e32 v23, v22, v26, vcc
	v_cndmask_b32_e32 v22, v1, v25, vcc
	v_or_b32_e32 v25, 0xd00, v0
	v_sub_u32_e32 v1, v25, v18
	global_load_dword v17, v[22:23], off
	v_add_co_u32_e32 v26, vcc, s0, v5
	v_lshlrev_b64 v[22:23], 2, v[1:2]
	v_addc_co_u32_e32 v27, vcc, 0, v4, vcc
	v_add_co_u32_e32 v1, vcc, v20, v22
	v_addc_co_u32_e32 v22, vcc, v21, v23, vcc
	v_cmp_lt_i32_e32 vcc, v25, v18
	v_cndmask_b32_e32 v23, v22, v27, vcc
	v_cndmask_b32_e32 v22, v1, v26, vcc
	global_load_dword v22, v[22:23], off
	v_or_b32_e32 v23, 0xe00, v0
	s_movk_i32 s0, 0x3800
	v_sub_u32_e32 v1, v23, v18
	v_add_co_u32_e32 v27, vcc, s0, v5
	v_lshlrev_b64 v[25:26], 2, v[1:2]
	v_addc_co_u32_e32 v28, vcc, 0, v4, vcc
	v_add_co_u32_e32 v1, vcc, v20, v25
	v_addc_co_u32_e32 v25, vcc, v21, v26, vcc
	v_cmp_lt_i32_e32 vcc, v23, v18
	v_cndmask_b32_e32 v26, v25, v28, vcc
	v_cndmask_b32_e32 v25, v1, v27, vcc
	global_load_dword v23, v[25:26], off
	v_or_b32_e32 v25, 0xf00, v0
	v_add_u32_e32 v1, v19, v18
	v_cmp_lt_i32_e32 vcc, v25, v1
	s_and_saveexec_b64 s[0:1], vcc
	s_cbranch_execz .LBB29_244
; %bb.243:
	v_add_co_u32_e32 v2, vcc, 0x3c00, v5
	v_addc_co_u32_e32 v26, vcc, 0, v4, vcc
	v_sub_u32_e32 v4, v25, v18
	v_mov_b32_e32 v5, 0
	v_lshlrev_b64 v[4:5], 2, v[4:5]
	v_add_co_u32_e32 v4, vcc, v20, v4
	v_addc_co_u32_e32 v5, vcc, v21, v5, vcc
	v_cmp_lt_i32_e32 vcc, v25, v18
	v_cndmask_b32_e32 v5, v5, v26, vcc
	v_cndmask_b32_e32 v4, v4, v2, vcc
	global_load_dword v2, v[4:5], off
.LBB29_244:
	s_or_b64 exec, exec, s[0:1]
	s_waitcnt vmcnt(13)
	ds_write2st64_b32 v24, v3, v6 offset0:4 offset1:8
	s_waitcnt vmcnt(11)
	ds_write2st64_b32 v24, v7, v8 offset0:12 offset1:16
	;; [unrolled: 2-line block ×8, first 2 shown]
	v_lshlrev_b32_e32 v2, 4, v0
	v_min_i32_e32 v2, v1, v2
	v_sub_u32_e32 v1, v2, v19
	v_max_i32_e32 v1, 0, v1
	v_min_i32_e32 v4, v18, v2
	v_lshlrev_b32_e32 v3, 2, v18
	v_cmp_lt_i32_e32 vcc, v1, v4
	s_waitcnt lgkmcnt(0)
	s_barrier
	s_and_saveexec_b64 s[0:1], vcc
	s_cbranch_execz .LBB29_248
; %bb.245:
	v_lshl_add_u32 v5, v2, 2, v3
	v_add_u32_e32 v5, 0x400, v5
	s_mov_b64 s[2:3], 0
.LBB29_246:                             ; =>This Inner Loop Header: Depth=1
	v_add_u32_e32 v6, v4, v1
	v_lshrrev_b32_e32 v6, 1, v6
	v_not_b32_e32 v8, v6
	v_lshlrev_b32_e32 v7, 2, v6
	v_lshl_add_u32 v8, v8, 2, v5
	ds_read_b32 v7, v7 offset:1024
	ds_read_b32 v8, v8
	v_add_u32_e32 v9, 1, v6
	s_waitcnt lgkmcnt(0)
	v_cmp_lt_i32_e32 vcc, v8, v7
	v_cndmask_b32_e32 v4, v4, v6, vcc
	v_cndmask_b32_e32 v1, v9, v1, vcc
	v_cmp_ge_i32_e32 vcc, v1, v4
	s_or_b64 s[2:3], vcc, s[2:3]
	s_andn2_b64 exec, exec, s[2:3]
	s_cbranch_execnz .LBB29_246
; %bb.247:
	s_or_b64 exec, exec, s[2:3]
.LBB29_248:
	s_or_b64 exec, exec, s[0:1]
	v_sub_u32_e32 v7, v2, v1
	v_cmp_lt_i32_e32 vcc, v7, v19
	v_mov_b32_e32 v5, 0
	s_and_saveexec_b64 s[2:3], vcc
	s_cbranch_execz .LBB29_283
; %bb.249:
	v_lshl_add_u32 v5, v7, 2, v3
	ds_read_b32 v6, v5 offset:1024
	v_mov_b32_e32 v4, 0
	v_cmp_lt_i32_e32 vcc, 0, v1
	v_mov_b32_e32 v8, 0
	s_and_saveexec_b64 s[0:1], vcc
	s_cbranch_execnz .LBB29_259
; %bb.250:
	s_or_b64 exec, exec, s[0:1]
	v_cmp_lt_i32_e32 vcc, v4, v8
	s_and_saveexec_b64 s[0:1], vcc
	s_cbranch_execnz .LBB29_260
.LBB29_251:
	s_or_b64 exec, exec, s[0:1]
	v_cmp_lt_i32_e32 vcc, v4, v8
	s_and_saveexec_b64 s[0:1], vcc
	s_cbranch_execnz .LBB29_261
.LBB29_252:
	s_or_b64 exec, exec, s[0:1]
	v_cmp_lt_i32_e32 vcc, v4, v8
	s_and_saveexec_b64 s[0:1], vcc
	s_cbranch_execnz .LBB29_262
.LBB29_253:
	s_or_b64 exec, exec, s[0:1]
	v_cmp_lt_i32_e32 vcc, v4, v8
	s_and_saveexec_b64 s[0:1], vcc
	s_cbranch_execnz .LBB29_263
	s_branch .LBB29_266
.LBB29_254:
	v_lshlrev_b32_e32 v6, 2, v5
	v_add_u32_e32 v5, 1, v5
	ds_write_b32 v6, v27 offset:19456
	s_or_b64 exec, exec, s[18:19]
	s_and_saveexec_b64 s[18:19], s[16:17]
	s_cbranch_execz .LBB29_214
.LBB29_255:
	v_lshlrev_b32_e32 v6, 2, v5
	v_add_u32_e32 v5, 1, v5
	ds_write_b32 v6, v26 offset:19456
	s_or_b64 exec, exec, s[18:19]
	s_and_saveexec_b64 s[16:17], s[14:15]
	s_cbranch_execz .LBB29_215
.LBB29_256:
	v_lshlrev_b32_e32 v6, 2, v5
	v_add_u32_e32 v5, 1, v5
	ds_write_b32 v6, v28 offset:19456
	s_or_b64 exec, exec, s[16:17]
	s_and_saveexec_b64 s[14:15], s[8:9]
	s_cbranch_execz .LBB29_216
.LBB29_257:
	v_lshlrev_b32_e32 v6, 2, v5
	v_add_u32_e32 v5, 1, v5
	ds_write_b32 v6, v29 offset:19456
	s_or_b64 exec, exec, s[14:15]
	s_and_saveexec_b64 s[8:9], s[4:5]
	s_cbranch_execz .LBB29_217
.LBB29_258:
	v_lshlrev_b32_e32 v6, 2, v5
	v_add_u32_e32 v5, 1, v5
	ds_write_b32 v6, v30 offset:19456
	s_or_b64 exec, exec, s[8:9]
	s_and_saveexec_b64 s[4:5], s[2:3]
	s_cbranch_execnz .LBB29_218
	s_branch .LBB29_219
.LBB29_259:
	s_movk_i32 s4, 0x1ff
	v_mul_lo_u32 v4, v1, s4
	v_ashrrev_i32_e32 v8, 9, v4
	v_lshlrev_b32_e32 v4, 2, v8
	ds_read_b32 v4, v4 offset:1024
	v_add_u32_e32 v9, 1, v8
	s_waitcnt lgkmcnt(0)
	v_cmp_lt_i32_e32 vcc, v4, v6
	v_cndmask_b32_e32 v4, 0, v9, vcc
	v_cndmask_b32_e32 v8, v8, v1, vcc
	s_or_b64 exec, exec, s[0:1]
	v_cmp_lt_i32_e32 vcc, v4, v8
	s_and_saveexec_b64 s[0:1], vcc
	s_cbranch_execz .LBB29_251
.LBB29_260:
	v_sub_u32_e32 v9, v4, v8
	v_lshl_add_u32 v9, v8, 7, v9
	v_ashrrev_i32_e32 v9, 7, v9
	v_lshlrev_b32_e32 v10, 2, v9
	ds_read_b32 v10, v10 offset:1024
	v_add_u32_e32 v11, 1, v9
	s_waitcnt lgkmcnt(0)
	v_cmp_lt_i32_e32 vcc, v10, v6
	v_cndmask_b32_e32 v4, v4, v11, vcc
	v_cndmask_b32_e32 v8, v9, v8, vcc
	s_or_b64 exec, exec, s[0:1]
	v_cmp_lt_i32_e32 vcc, v4, v8
	s_and_saveexec_b64 s[0:1], vcc
	s_cbranch_execz .LBB29_252
.LBB29_261:
	v_sub_u32_e32 v9, v4, v8
	v_lshl_add_u32 v9, v8, 5, v9
	v_ashrrev_i32_e32 v9, 5, v9
	v_lshlrev_b32_e32 v10, 2, v9
	ds_read_b32 v10, v10 offset:1024
	v_add_u32_e32 v11, 1, v9
	s_waitcnt lgkmcnt(0)
	v_cmp_lt_i32_e32 vcc, v10, v6
	v_cndmask_b32_e32 v4, v4, v11, vcc
	v_cndmask_b32_e32 v8, v9, v8, vcc
	s_or_b64 exec, exec, s[0:1]
	v_cmp_lt_i32_e32 vcc, v4, v8
	s_and_saveexec_b64 s[0:1], vcc
	s_cbranch_execz .LBB29_253
.LBB29_262:
	v_sub_u32_e32 v9, v4, v8
	v_lshl_add_u32 v9, v8, 4, v9
	v_ashrrev_i32_e32 v9, 4, v9
	v_lshlrev_b32_e32 v10, 2, v9
	ds_read_b32 v10, v10 offset:1024
	v_add_u32_e32 v11, 1, v9
	s_waitcnt lgkmcnt(0)
	v_cmp_lt_i32_e32 vcc, v10, v6
	v_cndmask_b32_e32 v4, v4, v11, vcc
	v_cndmask_b32_e32 v8, v9, v8, vcc
	s_or_b64 exec, exec, s[0:1]
	v_cmp_lt_i32_e32 vcc, v4, v8
	s_and_saveexec_b64 s[0:1], vcc
	s_cbranch_execz .LBB29_266
.LBB29_263:
	s_mov_b64 s[4:5], 0
.LBB29_264:                             ; =>This Inner Loop Header: Depth=1
	v_sub_u32_e32 v9, v4, v8
	v_lshl_add_u32 v9, v8, 1, v9
	v_ashrrev_i32_e32 v9, 1, v9
	v_lshlrev_b32_e32 v10, 2, v9
	ds_read_b32 v10, v10 offset:1024
	v_add_u32_e32 v11, 1, v9
	s_waitcnt lgkmcnt(0)
	v_cmp_lt_i32_e32 vcc, v10, v6
	v_cndmask_b32_e32 v4, v4, v11, vcc
	v_cndmask_b32_e32 v8, v9, v8, vcc
	v_cmp_ge_i32_e32 vcc, v4, v8
	s_or_b64 s[4:5], vcc, s[4:5]
	s_andn2_b64 exec, exec, s[4:5]
	s_cbranch_execnz .LBB29_264
; %bb.265:
	s_or_b64 exec, exec, s[4:5]
.LBB29_266:
	s_or_b64 exec, exec, s[0:1]
	v_mov_b32_e32 v8, 0
	v_cmp_lt_i32_e32 vcc, 0, v7
	v_mov_b32_e32 v9, v7
	s_and_saveexec_b64 s[0:1], vcc
	s_cbranch_execnz .LBB29_271
; %bb.267:
	s_or_b64 exec, exec, s[0:1]
	v_cmp_lt_i32_e32 vcc, v8, v9
	s_and_saveexec_b64 s[0:1], vcc
	s_cbranch_execnz .LBB29_272
.LBB29_268:
	s_or_b64 exec, exec, s[0:1]
	v_cmp_lt_i32_e32 vcc, v8, v9
	s_and_saveexec_b64 s[0:1], vcc
	s_cbranch_execnz .LBB29_273
.LBB29_269:
	s_or_b64 exec, exec, s[0:1]
	v_cmp_lt_i32_e32 vcc, v8, v9
	s_and_saveexec_b64 s[0:1], vcc
	s_cbranch_execnz .LBB29_274
.LBB29_270:
	s_or_b64 exec, exec, s[0:1]
	v_cmp_lt_i32_e32 vcc, v8, v9
	s_and_saveexec_b64 s[0:1], vcc
	s_cbranch_execnz .LBB29_275
	s_branch .LBB29_278
.LBB29_271:
	s_movk_i32 s4, 0x1ff
	v_mul_lo_u32 v8, v7, s4
	v_lshrrev_b32_e32 v9, 9, v8
	v_lshl_add_u32 v8, v9, 2, v3
	ds_read_b32 v8, v8 offset:1024
	v_add_u32_e32 v10, 1, v9
	s_waitcnt lgkmcnt(0)
	v_cmp_lt_i32_e32 vcc, v8, v6
	v_cndmask_b32_e32 v8, 0, v10, vcc
	v_cndmask_b32_e32 v9, v9, v7, vcc
	s_or_b64 exec, exec, s[0:1]
	v_cmp_lt_i32_e32 vcc, v8, v9
	s_and_saveexec_b64 s[0:1], vcc
	s_cbranch_execz .LBB29_268
.LBB29_272:
	v_sub_u32_e32 v10, v8, v9
	v_lshl_add_u32 v10, v9, 7, v10
	v_ashrrev_i32_e32 v10, 7, v10
	v_lshl_add_u32 v11, v10, 2, v3
	ds_read_b32 v11, v11 offset:1024
	v_add_u32_e32 v12, 1, v10
	s_waitcnt lgkmcnt(0)
	v_cmp_lt_i32_e32 vcc, v11, v6
	v_cndmask_b32_e32 v8, v8, v12, vcc
	v_cndmask_b32_e32 v9, v10, v9, vcc
	s_or_b64 exec, exec, s[0:1]
	v_cmp_lt_i32_e32 vcc, v8, v9
	s_and_saveexec_b64 s[0:1], vcc
	s_cbranch_execz .LBB29_269
.LBB29_273:
	v_sub_u32_e32 v10, v8, v9
	v_lshl_add_u32 v10, v9, 5, v10
	v_ashrrev_i32_e32 v10, 5, v10
	v_lshl_add_u32 v11, v10, 2, v3
	ds_read_b32 v11, v11 offset:1024
	v_add_u32_e32 v12, 1, v10
	s_waitcnt lgkmcnt(0)
	v_cmp_lt_i32_e32 vcc, v11, v6
	v_cndmask_b32_e32 v8, v8, v12, vcc
	v_cndmask_b32_e32 v9, v10, v9, vcc
	s_or_b64 exec, exec, s[0:1]
	v_cmp_lt_i32_e32 vcc, v8, v9
	s_and_saveexec_b64 s[0:1], vcc
	s_cbranch_execz .LBB29_270
.LBB29_274:
	v_sub_u32_e32 v10, v8, v9
	v_lshl_add_u32 v10, v9, 4, v10
	v_ashrrev_i32_e32 v10, 4, v10
	v_lshl_add_u32 v11, v10, 2, v3
	ds_read_b32 v11, v11 offset:1024
	v_add_u32_e32 v12, 1, v10
	s_waitcnt lgkmcnt(0)
	v_cmp_lt_i32_e32 vcc, v11, v6
	v_cndmask_b32_e32 v8, v8, v12, vcc
	v_cndmask_b32_e32 v9, v10, v9, vcc
	s_or_b64 exec, exec, s[0:1]
	v_cmp_lt_i32_e32 vcc, v8, v9
	s_and_saveexec_b64 s[0:1], vcc
	s_cbranch_execz .LBB29_278
.LBB29_275:
	s_mov_b64 s[4:5], 0
.LBB29_276:                             ; =>This Inner Loop Header: Depth=1
	v_sub_u32_e32 v10, v8, v9
	v_lshl_add_u32 v10, v9, 1, v10
	v_ashrrev_i32_e32 v10, 1, v10
	v_lshl_add_u32 v11, v10, 2, v3
	ds_read_b32 v11, v11 offset:1024
	v_add_u32_e32 v12, 1, v10
	s_waitcnt lgkmcnt(0)
	v_cmp_lt_i32_e32 vcc, v11, v6
	v_cndmask_b32_e32 v8, v8, v12, vcc
	v_cndmask_b32_e32 v9, v10, v9, vcc
	v_cmp_ge_i32_e32 vcc, v8, v9
	s_or_b64 s[4:5], vcc, s[4:5]
	s_andn2_b64 exec, exec, s[4:5]
	s_cbranch_execnz .LBB29_276
; %bb.277:
	s_or_b64 exec, exec, s[4:5]
.LBB29_278:
	s_or_b64 exec, exec, s[0:1]
	v_sub_u32_e32 v1, v1, v4
	v_sub_u32_e32 v10, v7, v8
	v_add_u32_e32 v9, v10, v1
	v_ashrrev_i32_e32 v1, 1, v9
	v_max_i32_e32 v1, v1, v10
	v_add3_u32 v8, v8, v1, 1
	v_min_i32_e32 v8, v8, v19
	v_sub_u32_e32 v8, v8, v7
	v_mov_b32_e32 v7, 0
	v_cmp_lt_i32_e32 vcc, 0, v8
	s_and_saveexec_b64 s[0:1], vcc
	s_cbranch_execz .LBB29_282
; %bb.279:
	v_mov_b32_e32 v7, 0
	s_mov_b64 s[4:5], 0
.LBB29_280:                             ; =>This Inner Loop Header: Depth=1
	v_add_u32_e32 v11, v7, v8
	v_lshrrev_b32_e32 v11, 1, v11
	v_lshl_add_u32 v12, v11, 2, v5
	ds_read_b32 v12, v12 offset:1024
	v_add_u32_e32 v13, 1, v11
	s_waitcnt lgkmcnt(0)
	v_cmp_lt_i32_e32 vcc, v6, v12
	v_cndmask_b32_e32 v7, v13, v7, vcc
	v_cndmask_b32_e32 v8, v8, v11, vcc
	v_cmp_ge_i32_e32 vcc, v7, v8
	s_or_b64 s[4:5], vcc, s[4:5]
	s_andn2_b64 exec, exec, s[4:5]
	s_cbranch_execnz .LBB29_280
; %bb.281:
	s_or_b64 exec, exec, s[4:5]
.LBB29_282:
	s_or_b64 exec, exec, s[0:1]
	v_add_u32_e32 v5, v7, v10
	s_waitcnt lgkmcnt(0)
	v_min_i32_e32 v6, v5, v1
	v_sub_u32_e32 v7, v9, v6
	v_add_u32_e32 v6, 1, v6
	v_cmp_eq_u32_e32 vcc, v7, v6
	v_cmp_lt_i32_e64 s[0:1], v1, v5
	s_and_b64 s[0:1], s[0:1], vcc
	v_cndmask_b32_e64 v5, 0, 1, s[0:1]
	v_add_u32_e32 v1, v7, v4
.LBB29_283:
	s_or_b64 exec, exec, s[2:3]
	v_add_u32_e32 v2, v5, v2
	v_sub_u32_e32 v2, v2, v1
	v_lshlrev_b32_e32 v4, 16, v18
	v_or_b32_e32 v4, v4, v19
	v_lshl_or_b32 v5, v1, 16, v2
	v_subrev_co_u32_e64 v6, s[0:1], 1, v0
	v_cndmask_b32_e64 v4, v5, v4, s[0:1]
	v_mov_b32_e32 v5, 0xff
	v_cndmask_b32_e64 v5, v6, v5, s[0:1]
	v_lshlrev_b32_e32 v5, 2, v5
	v_lshlrev_b32_e32 v6, 2, v1
	ds_write_b32 v5, v4
	s_waitcnt lgkmcnt(0)
	s_barrier
	v_lshl_add_u32 v8, v2, 2, v3
	ds_read_b32 v20, v6 offset:1024
	ds_read_b32 v4, v8 offset:1024
	ds_read_b32 v3, v24
	v_mov_b32_e32 v5, v1
	s_waitcnt lgkmcnt(2)
	v_mov_b32_e32 v19, v20
	s_waitcnt lgkmcnt(1)
	v_cmp_ge_i32_e32 vcc, v4, v20
	s_and_saveexec_b64 s[2:3], vcc
; %bb.284:
	ds_read_b32 v19, v6 offset:1028
	v_add_u32_e32 v5, 1, v1
; %bb.285:
	s_or_b64 exec, exec, s[2:3]
	v_add_u32_e32 v6, v2, v18
	v_cmp_ge_i32_e32 vcc, v20, v4
	v_mov_b32_e32 v7, v4
	s_and_saveexec_b64 s[2:3], vcc
; %bb.286:
	ds_read_b32 v7, v8 offset:1028
	v_add_u32_e32 v6, 1, v6
; %bb.287:
	s_or_b64 exec, exec, s[2:3]
	s_waitcnt lgkmcnt(0)
	v_cmp_ge_i32_e32 vcc, v7, v19
	v_mov_b32_e32 v21, v19
	v_mov_b32_e32 v8, v5
	s_and_saveexec_b64 s[2:3], vcc
; %bb.288:
	v_lshlrev_b32_e32 v8, 2, v5
	ds_read_b32 v21, v8 offset:1028
	v_add_u32_e32 v8, 1, v5
; %bb.289:
	s_or_b64 exec, exec, s[2:3]
	v_cmp_ge_i32_e32 vcc, v19, v7
	v_mov_b32_e32 v9, v7
	v_mov_b32_e32 v10, v6
	s_and_saveexec_b64 s[2:3], vcc
; %bb.290:
	v_lshlrev_b32_e32 v9, 2, v6
	ds_read_b32 v9, v9 offset:1028
	v_add_u32_e32 v10, 1, v6
; %bb.291:
	s_or_b64 exec, exec, s[2:3]
	s_waitcnt lgkmcnt(0)
	v_cmp_ge_i32_e32 vcc, v9, v21
	v_mov_b32_e32 v22, v21
	v_mov_b32_e32 v11, v8
	s_and_saveexec_b64 s[2:3], vcc
; %bb.292:
	v_lshlrev_b32_e32 v11, 2, v8
	ds_read_b32 v22, v11 offset:1028
	v_add_u32_e32 v11, 1, v8
; %bb.293:
	s_or_b64 exec, exec, s[2:3]
	v_cmp_ge_i32_e32 vcc, v21, v9
	v_mov_b32_e32 v12, v9
	v_mov_b32_e32 v13, v10
	s_and_saveexec_b64 s[2:3], vcc
; %bb.294:
	v_lshlrev_b32_e32 v12, 2, v10
	;; [unrolled: 21-line block ×14, first 2 shown]
	ds_read_b32 v67, v66 offset:1028
	v_add_u32_e32 v66, 1, v64
; %bb.343:
	s_or_b64 exec, exec, s[2:3]
	v_add_u32_sdwa v18, v3, v18 dst_sel:DWORD dst_unused:UNUSED_PAD src0_sel:WORD_0 src1_sel:DWORD
	v_cmp_ge_i32_sdwa s[4:5], v65, sext(v3) src0_sel:DWORD src1_sel:WORD_1
	v_cmp_ge_i32_e64 s[2:3], v66, v18
	s_waitcnt lgkmcnt(0)
	v_cmp_ne_u32_e32 vcc, v67, v35
	s_or_b64 s[2:3], s[4:5], s[2:3]
	v_mov_b32_e32 v65, 0x8000
	s_or_b64 s[2:3], vcc, s[2:3]
	v_cndmask_b32_e64 v65, v65, 0, s[2:3]
	v_cmp_ge_i32_sdwa s[4:5], v62, sext(v3) src0_sel:DWORD src1_sel:WORD_1
	v_cmp_ge_i32_e64 s[2:3], v64, v18
	v_cmp_ne_u32_e32 vcc, v63, v34
	s_or_b64 s[2:3], s[4:5], s[2:3]
	v_mov_b32_e32 v62, 0x4000
	s_or_b64 s[2:3], vcc, s[2:3]
	v_cndmask_b32_e64 v62, v62, 0, s[2:3]
	v_cmp_ge_i32_sdwa s[4:5], v59, sext(v3) src0_sel:DWORD src1_sel:WORD_1
	v_cmp_ge_i32_e64 s[2:3], v61, v18
	v_cmp_ne_u32_e32 vcc, v60, v33
	s_or_b64 s[2:3], s[4:5], s[2:3]
	v_mov_b32_e32 v59, 0x2000
	s_or_b64 s[2:3], vcc, s[2:3]
	v_cndmask_b32_e64 v59, v59, 0, s[2:3]
	v_cmp_ge_i32_sdwa s[4:5], v56, sext(v3) src0_sel:DWORD src1_sel:WORD_1
	v_cmp_ge_i32_e64 s[2:3], v58, v18
	v_cmp_ne_u32_e32 vcc, v57, v32
	s_or_b64 s[2:3], s[4:5], s[2:3]
	v_mov_b32_e32 v56, 0x1000
	s_or_b64 s[2:3], vcc, s[2:3]
	v_cndmask_b32_e64 v56, v56, 0, s[2:3]
	v_cmp_ge_i32_sdwa s[4:5], v53, sext(v3) src0_sel:DWORD src1_sel:WORD_1
	v_cmp_ge_i32_e64 s[2:3], v55, v18
	v_cmp_ne_u32_e32 vcc, v54, v31
	s_or_b64 s[2:3], s[4:5], s[2:3]
	v_mov_b32_e32 v53, 0x800
	s_or_b64 s[2:3], vcc, s[2:3]
	v_cndmask_b32_e64 v53, v53, 0, s[2:3]
	v_cmp_ge_i32_sdwa s[4:5], v50, sext(v3) src0_sel:DWORD src1_sel:WORD_1
	v_cmp_ge_i32_e64 s[2:3], v52, v18
	v_cmp_ne_u32_e32 vcc, v51, v30
	s_or_b64 s[2:3], s[4:5], s[2:3]
	v_mov_b32_e32 v50, 0x400
	s_or_b64 s[2:3], vcc, s[2:3]
	v_cndmask_b32_e64 v50, v50, 0, s[2:3]
	v_cmp_ge_i32_sdwa s[4:5], v47, sext(v3) src0_sel:DWORD src1_sel:WORD_1
	v_cmp_ge_i32_e64 s[2:3], v49, v18
	v_cmp_ne_u32_e32 vcc, v48, v29
	s_or_b64 s[2:3], s[4:5], s[2:3]
	v_mov_b32_e32 v47, 0x200
	s_or_b64 s[2:3], vcc, s[2:3]
	v_cndmask_b32_e64 v47, v47, 0, s[2:3]
	v_cmp_ge_i32_sdwa s[4:5], v44, sext(v3) src0_sel:DWORD src1_sel:WORD_1
	v_cmp_ge_i32_e64 s[2:3], v46, v18
	v_cmp_ne_u32_e32 vcc, v45, v28
	s_or_b64 s[2:3], s[4:5], s[2:3]
	v_mov_b32_e32 v44, 0x100
	s_or_b64 s[2:3], vcc, s[2:3]
	v_cndmask_b32_e64 v44, v44, 0, s[2:3]
	v_cmp_ge_i32_sdwa s[4:5], v41, sext(v3) src0_sel:DWORD src1_sel:WORD_1
	v_cmp_ge_i32_e64 s[2:3], v43, v18
	v_cmp_ne_u32_e32 vcc, v42, v27
	s_or_b64 s[2:3], s[4:5], s[2:3]
	v_mov_b32_e32 v41, 0x80
	s_or_b64 s[2:3], vcc, s[2:3]
	v_cndmask_b32_e64 v41, v41, 0, s[2:3]
	v_cmp_ge_i32_sdwa s[4:5], v38, sext(v3) src0_sel:DWORD src1_sel:WORD_1
	v_cmp_ge_i32_e64 s[2:3], v40, v18
	v_cmp_ne_u32_e32 vcc, v39, v26
	s_or_b64 s[2:3], s[4:5], s[2:3]
	s_or_b64 s[2:3], vcc, s[2:3]
	v_cndmask_b32_e64 v38, 64, 0, s[2:3]
	v_cmp_ge_i32_sdwa s[4:5], v17, sext(v3) src0_sel:DWORD src1_sel:WORD_1
	v_cmp_ge_i32_e64 s[2:3], v37, v18
	v_cmp_ne_u32_e32 vcc, v36, v25
	s_or_b64 s[2:3], s[4:5], s[2:3]
	s_or_b64 s[8:9], vcc, s[2:3]
	v_cmp_ge_i32_sdwa s[10:11], v14, sext(v3) src0_sel:DWORD src1_sel:WORD_1
	v_cmp_ge_i32_e64 s[2:3], v16, v18
	v_cmp_ne_u32_e32 vcc, v15, v23
	s_or_b64 s[2:3], s[10:11], s[2:3]
	s_or_b64 s[10:11], vcc, s[2:3]
	;; [unrolled: 5-line block ×5, first 2 shown]
	v_cmp_gt_i32_sdwa s[2:3], sext(v3), v1 src0_sel:WORD_1 src1_sel:DWORD
	v_cmp_gt_i32_sdwa s[18:19], v3, v2 src0_sel:WORD_0 src1_sel:DWORD
	v_cmp_eq_u32_e32 vcc, v4, v20
	s_and_b64 s[2:3], s[2:3], s[18:19]
	s_and_b64 s[18:19], s[2:3], vcc
	v_cndmask_b32_e64 v8, 4, 0, s[16:17]
	v_cndmask_b32_e64 v5, 2, 0, s[20:21]
	;; [unrolled: 1-line block ×5, first 2 shown]
	v_or3_b32 v1, v5, v1, v8
	v_cndmask_b32_e64 v17, 32, 0, s[8:9]
	v_or3_b32 v1, v1, v11, v14
	v_or3_b32 v40, v1, v17, v38
	v_or_b32_e32 v39, v41, v40
	v_or3_b32 v38, v44, v47, v39
	v_or3_b32 v37, v50, v53, v38
	;; [unrolled: 1-line block ×4, first 2 shown]
	s_mov_b64 s[4:5], -1
	v_bcnt_u32_b32 v9, v18, 0
	v_mov_b32_e32 v10, 0
	s_cmp_lg_u32 s6, 0
	v_mbcnt_lo_u32_b32 v41, -1, 0
	s_barrier
	s_cbranch_scc0 .LBB29_397
; %bb.344:
	v_mbcnt_hi_u32_b32 v16, -1, v41
	v_and_b32_e32 v6, 15, v16
	v_mov_b32_e32 v3, v9
	v_mov_b32_dpp v1, v9 row_shr:1 row_mask:0xf bank_mask:0xf
	v_mov_b32_dpp v7, v10 row_shr:1 row_mask:0xf bank_mask:0xf
	v_cmp_ne_u32_e32 vcc, 0, v6
	v_mov_b32_e32 v5, v9
	v_mov_b32_e32 v2, v10
	;; [unrolled: 1-line block ×3, first 2 shown]
	s_and_saveexec_b64 s[2:3], vcc
; %bb.345:
	v_add_co_u32_e32 v5, vcc, v1, v9
	v_addc_co_u32_e64 v2, s[4:5], 0, 0, vcc
	v_add_co_u32_e32 v1, vcc, 0, v5
	v_addc_co_u32_e32 v2, vcc, v7, v2, vcc
	v_mov_b32_e32 v4, v2
	v_mov_b32_e32 v3, v1
; %bb.346:
	s_or_b64 exec, exec, s[2:3]
	v_mov_b32_dpp v1, v5 row_shr:2 row_mask:0xf bank_mask:0xf
	v_mov_b32_dpp v7, v2 row_shr:2 row_mask:0xf bank_mask:0xf
	v_cmp_lt_u32_e32 vcc, 1, v6
	s_and_saveexec_b64 s[2:3], vcc
; %bb.347:
	v_add_co_u32_e32 v5, vcc, v3, v1
	v_addc_co_u32_e32 v2, vcc, 0, v4, vcc
	v_add_co_u32_e32 v1, vcc, 0, v5
	v_addc_co_u32_e32 v2, vcc, v7, v2, vcc
	v_mov_b32_e32 v4, v2
	v_mov_b32_e32 v3, v1
; %bb.348:
	s_or_b64 exec, exec, s[2:3]
	v_mov_b32_dpp v1, v5 row_shr:4 row_mask:0xf bank_mask:0xf
	v_mov_b32_dpp v7, v2 row_shr:4 row_mask:0xf bank_mask:0xf
	v_cmp_lt_u32_e32 vcc, 3, v6
	s_and_saveexec_b64 s[2:3], vcc
; %bb.349:
	v_add_co_u32_e32 v5, vcc, v3, v1
	v_addc_co_u32_e32 v2, vcc, 0, v4, vcc
	;; [unrolled: 13-line block ×3, first 2 shown]
	v_add_co_u32_e32 v1, vcc, 0, v5
	v_addc_co_u32_e32 v2, vcc, v7, v2, vcc
	v_mov_b32_e32 v4, v2
	v_mov_b32_e32 v3, v1
; %bb.352:
	s_or_b64 exec, exec, s[2:3]
	v_and_b32_e32 v7, 16, v16
	v_mov_b32_dpp v1, v5 row_bcast:15 row_mask:0xf bank_mask:0xf
	v_mov_b32_dpp v6, v2 row_bcast:15 row_mask:0xf bank_mask:0xf
	v_cmp_ne_u32_e32 vcc, 0, v7
	s_and_saveexec_b64 s[2:3], vcc
; %bb.353:
	v_add_co_u32_e32 v5, vcc, v3, v1
	v_addc_co_u32_e32 v2, vcc, 0, v4, vcc
	v_add_co_u32_e32 v1, vcc, 0, v5
	v_addc_co_u32_e32 v2, vcc, v6, v2, vcc
	v_mov_b32_e32 v4, v2
	v_mov_b32_e32 v3, v1
; %bb.354:
	s_or_b64 exec, exec, s[2:3]
	v_mov_b32_dpp v7, v5 row_bcast:31 row_mask:0xf bank_mask:0xf
	v_add_co_u32_e64 v7, s[2:3], v3, v7
	v_mov_b32_dpp v1, v2 row_bcast:31 row_mask:0xf bank_mask:0xf
	v_addc_co_u32_e64 v2, s[2:3], 0, v4, s[2:3]
	v_or_b32_e32 v8, 63, v0
	v_lshrrev_b32_e32 v6, 6, v0
	v_cmp_lt_u32_e32 vcc, 31, v16
	v_cmp_eq_u32_e64 s[2:3], v0, v8
	s_and_saveexec_b64 s[4:5], s[2:3]
	s_cbranch_execz .LBB29_356
; %bb.355:
	v_add_co_u32_e64 v11, s[2:3], 0, v7
	v_addc_co_u32_e64 v1, s[2:3], v1, v2, s[2:3]
	v_lshlrev_b32_e32 v8, 3, v6
	v_cndmask_b32_e32 v2, v4, v1, vcc
	v_cndmask_b32_e32 v1, v3, v11, vcc
	ds_write_b64 v8, v[1:2]
.LBB29_356:
	s_or_b64 exec, exec, s[4:5]
	v_cmp_gt_u32_e64 s[2:3], 4, v0
	s_waitcnt lgkmcnt(0)
	s_barrier
	s_and_saveexec_b64 s[4:5], s[2:3]
	s_cbranch_execz .LBB29_360
; %bb.357:
	v_lshlrev_b32_e32 v3, 3, v0
	ds_read_b64 v[1:2], v3
	v_and_b32_e32 v4, 3, v16
	v_cmp_ne_u32_e64 s[2:3], 0, v4
	s_waitcnt lgkmcnt(0)
	v_mov_b32_dpp v12, v1 row_shr:1 row_mask:0xf bank_mask:0xf
	v_mov_b32_dpp v11, v2 row_shr:1 row_mask:0xf bank_mask:0xf
	v_mov_b32_e32 v8, v1
	s_and_saveexec_b64 s[22:23], s[2:3]
; %bb.358:
	v_add_co_u32_e64 v8, s[2:3], v1, v12
	v_addc_co_u32_e64 v2, s[2:3], 0, v2, s[2:3]
	v_add_co_u32_e64 v1, s[2:3], 0, v8
	v_addc_co_u32_e64 v2, s[2:3], v11, v2, s[2:3]
; %bb.359:
	s_or_b64 exec, exec, s[22:23]
	v_mov_b32_dpp v8, v8 row_shr:2 row_mask:0xf bank_mask:0xf
	v_add_co_u32_e64 v8, s[2:3], v1, v8
	v_addc_co_u32_e64 v12, s[2:3], 0, v2, s[2:3]
	v_mov_b32_dpp v11, v2 row_shr:2 row_mask:0xf bank_mask:0xf
	v_add_co_u32_e64 v8, s[2:3], 0, v8
	v_addc_co_u32_e64 v11, s[2:3], v12, v11, s[2:3]
	v_cmp_lt_u32_e64 s[2:3], 1, v4
	v_cndmask_b32_e64 v2, v2, v11, s[2:3]
	v_cndmask_b32_e64 v1, v1, v8, s[2:3]
	ds_write_b64 v3, v[1:2]
.LBB29_360:
	s_or_b64 exec, exec, s[4:5]
	v_cndmask_b32_e32 v1, v5, v7, vcc
	v_cmp_gt_u32_e32 vcc, 64, v0
	v_cmp_lt_u32_e64 s[2:3], 63, v0
	s_waitcnt lgkmcnt(0)
	s_barrier
                                        ; implicit-def: $vgpr11_vgpr12
	s_and_saveexec_b64 s[4:5], s[2:3]
	s_cbranch_execz .LBB29_362
; %bb.361:
	v_lshl_add_u32 v2, v6, 3, -8
	ds_read_b64 v[11:12], v2
	s_waitcnt lgkmcnt(0)
	v_add_u32_e32 v1, v1, v11
.LBB29_362:
	s_or_b64 exec, exec, s[4:5]
	v_subrev_co_u32_e64 v2, s[2:3], 1, v16
	v_and_b32_e32 v3, 64, v16
	v_cmp_lt_i32_e64 s[4:5], v2, v3
	v_cndmask_b32_e64 v2, v2, v16, s[4:5]
	v_lshlrev_b32_e32 v2, 2, v2
	ds_bpermute_b32 v42, v2, v1
	s_and_saveexec_b64 s[4:5], vcc
	s_cbranch_execz .LBB29_402
; %bb.363:
	v_mov_b32_e32 v4, 0
	ds_read_b64 v[1:2], v4 offset:24
	s_and_saveexec_b64 s[22:23], s[2:3]
	s_cbranch_execz .LBB29_365
; %bb.364:
	s_add_i32 s24, s6, 64
	s_mov_b32 s25, 0
	s_lshl_b64 s[24:25], s[24:25], 4
	s_add_u32 s24, s12, s24
	s_addc_u32 s25, s13, s25
	v_mov_b32_e32 v5, s24
	v_mov_b32_e32 v3, 1
	;; [unrolled: 1-line block ×3, first 2 shown]
	s_waitcnt lgkmcnt(0)
	;;#ASMSTART
	global_store_dwordx4 v[5:6], v[1:4] off	
s_waitcnt vmcnt(0)
	;;#ASMEND
.LBB29_365:
	s_or_b64 exec, exec, s[22:23]
	v_xad_u32 v12, v16, -1, s6
	v_add_u32_e32 v3, 64, v12
	v_lshlrev_b64 v[5:6], 4, v[3:4]
	v_mov_b32_e32 v3, s13
	v_add_co_u32_e32 v13, vcc, s12, v5
	v_addc_co_u32_e32 v14, vcc, v3, v6, vcc
	;;#ASMSTART
	global_load_dwordx4 v[5:8], v[13:14] off glc	
s_waitcnt vmcnt(0)
	;;#ASMEND
	v_cmp_eq_u16_sdwa s[24:25], v7, v4 src0_sel:BYTE_0 src1_sel:DWORD
	s_and_saveexec_b64 s[22:23], s[24:25]
	s_cbranch_execz .LBB29_369
; %bb.366:
	s_mov_b64 s[24:25], 0
	v_mov_b32_e32 v3, 0
.LBB29_367:                             ; =>This Inner Loop Header: Depth=1
	;;#ASMSTART
	global_load_dwordx4 v[5:8], v[13:14] off glc	
s_waitcnt vmcnt(0)
	;;#ASMEND
	v_cmp_ne_u16_sdwa s[26:27], v7, v3 src0_sel:BYTE_0 src1_sel:DWORD
	s_or_b64 s[24:25], s[26:27], s[24:25]
	s_andn2_b64 exec, exec, s[24:25]
	s_cbranch_execnz .LBB29_367
; %bb.368:
	s_or_b64 exec, exec, s[24:25]
.LBB29_369:
	s_or_b64 exec, exec, s[22:23]
	v_and_b32_e32 v43, 63, v16
	v_mov_b32_e32 v3, 2
	v_lshlrev_b64 v[14:15], v16, -1
	v_cmp_ne_u32_e32 vcc, 63, v43
	v_cmp_eq_u16_sdwa s[22:23], v7, v3 src0_sel:BYTE_0 src1_sel:DWORD
	v_addc_co_u32_e32 v8, vcc, 0, v16, vcc
	v_and_b32_e32 v3, s23, v15
	v_lshlrev_b32_e32 v44, 2, v8
	v_or_b32_e32 v3, 0x80000000, v3
	ds_bpermute_b32 v13, v44, v5
	ds_bpermute_b32 v8, v44, v6
	v_and_b32_e32 v4, s22, v14
	v_ffbl_b32_e32 v3, v3
	v_add_u32_e32 v3, 32, v3
	v_ffbl_b32_e32 v4, v4
	v_min_u32_e32 v3, v4, v3
	v_cmp_lt_u32_e32 vcc, v43, v3
	v_mov_b32_e32 v4, v5
	s_and_saveexec_b64 s[22:23], vcc
	s_cbranch_execz .LBB29_371
; %bb.370:
	s_waitcnt lgkmcnt(1)
	v_add_co_u32_e32 v4, vcc, v5, v13
	v_addc_co_u32_e32 v6, vcc, 0, v6, vcc
	v_add_co_u32_e32 v5, vcc, 0, v4
	s_waitcnt lgkmcnt(0)
	v_addc_co_u32_e32 v6, vcc, v8, v6, vcc
.LBB29_371:
	s_or_b64 exec, exec, s[22:23]
	v_cmp_gt_u32_e32 vcc, 62, v43
	s_waitcnt lgkmcnt(0)
	v_cndmask_b32_e64 v8, 0, 2, vcc
	v_add_lshl_u32 v45, v8, v16, 2
	ds_bpermute_b32 v13, v45, v4
	ds_bpermute_b32 v8, v45, v6
	v_add_u32_e32 v46, 2, v43
	v_cmp_le_u32_e32 vcc, v46, v3
	s_and_saveexec_b64 s[22:23], vcc
	s_cbranch_execz .LBB29_373
; %bb.372:
	s_waitcnt lgkmcnt(1)
	v_add_co_u32_e32 v4, vcc, v5, v13
	v_addc_co_u32_e32 v6, vcc, 0, v6, vcc
	v_add_co_u32_e32 v5, vcc, 0, v4
	s_waitcnt lgkmcnt(0)
	v_addc_co_u32_e32 v6, vcc, v8, v6, vcc
.LBB29_373:
	s_or_b64 exec, exec, s[22:23]
	v_cmp_gt_u32_e32 vcc, 60, v43
	s_waitcnt lgkmcnt(0)
	v_cndmask_b32_e64 v8, 0, 4, vcc
	v_add_lshl_u32 v47, v8, v16, 2
	ds_bpermute_b32 v13, v47, v4
	ds_bpermute_b32 v8, v47, v6
	v_add_u32_e32 v48, 4, v43
	v_cmp_le_u32_e32 vcc, v48, v3
	;; [unrolled: 19-line block ×4, first 2 shown]
	s_and_saveexec_b64 s[22:23], vcc
	s_cbranch_execz .LBB29_379
; %bb.378:
	s_waitcnt lgkmcnt(1)
	v_add_co_u32_e32 v4, vcc, v5, v13
	v_addc_co_u32_e32 v6, vcc, 0, v6, vcc
	v_add_co_u32_e32 v5, vcc, 0, v4
	s_waitcnt lgkmcnt(0)
	v_addc_co_u32_e32 v6, vcc, v8, v6, vcc
.LBB29_379:
	s_or_b64 exec, exec, s[22:23]
	s_waitcnt lgkmcnt(0)
	v_mov_b32_e32 v8, 0x80
	v_lshl_or_b32 v53, v16, 2, v8
	ds_bpermute_b32 v4, v53, v4
	ds_bpermute_b32 v8, v53, v6
	v_add_u32_e32 v54, 32, v43
	v_mov_b32_e32 v13, 0
	v_mov_b32_e32 v55, 2
	s_waitcnt lgkmcnt(1)
	v_add_co_u32_e32 v4, vcc, v5, v4
	v_addc_co_u32_e32 v16, vcc, 0, v6, vcc
	v_add_co_u32_e32 v4, vcc, 0, v4
	s_waitcnt lgkmcnt(0)
	v_addc_co_u32_e32 v8, vcc, v16, v8, vcc
	v_cmp_gt_u32_e32 vcc, v54, v3
	v_cndmask_b32_e32 v6, v8, v6, vcc
	v_cndmask_b32_e32 v5, v4, v5, vcc
	s_branch .LBB29_382
.LBB29_380:                             ;   in Loop: Header=BB29_382 Depth=1
	s_or_b64 exec, exec, s[22:23]
	ds_bpermute_b32 v16, v53, v16
	s_waitcnt lgkmcnt(1)
	ds_bpermute_b32 v17, v53, v6
	v_subrev_u32_e32 v12, 64, v12
	s_mov_b64 s[22:23], 0
	s_waitcnt lgkmcnt(1)
	v_add_co_u32_e32 v16, vcc, v5, v16
	v_addc_co_u32_e32 v56, vcc, 0, v6, vcc
	v_add_co_u32_e32 v16, vcc, 0, v16
	s_waitcnt lgkmcnt(0)
	v_addc_co_u32_e32 v17, vcc, v56, v17, vcc
	v_cmp_gt_u32_e32 vcc, v54, v8
	v_cndmask_b32_e32 v5, v16, v5, vcc
	v_cndmask_b32_e32 v6, v17, v6, vcc
	v_add_co_u32_e32 v5, vcc, v5, v3
	v_addc_co_u32_e32 v6, vcc, v6, v4, vcc
.LBB29_381:                             ;   in Loop: Header=BB29_382 Depth=1
	s_and_b64 vcc, exec, s[22:23]
	s_cbranch_vccnz .LBB29_398
.LBB29_382:                             ; =>This Loop Header: Depth=1
                                        ;     Child Loop BB29_385 Depth 2
	v_mov_b32_e32 v3, v5
	v_cmp_ne_u16_sdwa s[22:23], v7, v55 src0_sel:BYTE_0 src1_sel:DWORD
	v_mov_b32_e32 v4, v6
	s_cmp_lg_u64 s[22:23], exec
	s_mov_b64 s[22:23], -1
                                        ; implicit-def: $vgpr5_vgpr6
                                        ; implicit-def: $vgpr7
	s_cbranch_scc1 .LBB29_381
; %bb.383:                              ;   in Loop: Header=BB29_382 Depth=1
	v_lshlrev_b64 v[5:6], 4, v[12:13]
	v_mov_b32_e32 v7, s13
	v_add_co_u32_e32 v16, vcc, s12, v5
	v_addc_co_u32_e32 v17, vcc, v7, v6, vcc
	;;#ASMSTART
	global_load_dwordx4 v[5:8], v[16:17] off glc	
s_waitcnt vmcnt(0)
	;;#ASMEND
	v_cmp_eq_u16_sdwa s[24:25], v7, v13 src0_sel:BYTE_0 src1_sel:DWORD
	s_and_saveexec_b64 s[22:23], s[24:25]
	s_cbranch_execz .LBB29_387
; %bb.384:                              ;   in Loop: Header=BB29_382 Depth=1
	s_mov_b64 s[24:25], 0
.LBB29_385:                             ;   Parent Loop BB29_382 Depth=1
                                        ; =>  This Inner Loop Header: Depth=2
	;;#ASMSTART
	global_load_dwordx4 v[5:8], v[16:17] off glc	
s_waitcnt vmcnt(0)
	;;#ASMEND
	v_cmp_ne_u16_sdwa s[26:27], v7, v13 src0_sel:BYTE_0 src1_sel:DWORD
	s_or_b64 s[24:25], s[26:27], s[24:25]
	s_andn2_b64 exec, exec, s[24:25]
	s_cbranch_execnz .LBB29_385
; %bb.386:                              ;   in Loop: Header=BB29_382 Depth=1
	s_or_b64 exec, exec, s[24:25]
.LBB29_387:                             ;   in Loop: Header=BB29_382 Depth=1
	s_or_b64 exec, exec, s[22:23]
	v_cmp_eq_u16_sdwa s[22:23], v7, v55 src0_sel:BYTE_0 src1_sel:DWORD
	v_and_b32_e32 v8, s23, v15
	v_or_b32_e32 v8, 0x80000000, v8
	ds_bpermute_b32 v56, v44, v5
	ds_bpermute_b32 v17, v44, v6
	v_and_b32_e32 v16, s22, v14
	v_ffbl_b32_e32 v8, v8
	v_add_u32_e32 v8, 32, v8
	v_ffbl_b32_e32 v16, v16
	v_min_u32_e32 v8, v16, v8
	v_cmp_lt_u32_e32 vcc, v43, v8
	v_mov_b32_e32 v16, v5
	s_and_saveexec_b64 s[22:23], vcc
	s_cbranch_execz .LBB29_389
; %bb.388:                              ;   in Loop: Header=BB29_382 Depth=1
	s_waitcnt lgkmcnt(1)
	v_add_co_u32_e32 v16, vcc, v5, v56
	v_addc_co_u32_e32 v6, vcc, 0, v6, vcc
	v_add_co_u32_e32 v5, vcc, 0, v16
	s_waitcnt lgkmcnt(0)
	v_addc_co_u32_e32 v6, vcc, v17, v6, vcc
.LBB29_389:                             ;   in Loop: Header=BB29_382 Depth=1
	s_or_b64 exec, exec, s[22:23]
	s_waitcnt lgkmcnt(1)
	ds_bpermute_b32 v56, v45, v16
	s_waitcnt lgkmcnt(1)
	ds_bpermute_b32 v17, v45, v6
	v_cmp_le_u32_e32 vcc, v46, v8
	s_and_saveexec_b64 s[22:23], vcc
	s_cbranch_execz .LBB29_391
; %bb.390:                              ;   in Loop: Header=BB29_382 Depth=1
	s_waitcnt lgkmcnt(1)
	v_add_co_u32_e32 v16, vcc, v5, v56
	v_addc_co_u32_e32 v6, vcc, 0, v6, vcc
	v_add_co_u32_e32 v5, vcc, 0, v16
	s_waitcnt lgkmcnt(0)
	v_addc_co_u32_e32 v6, vcc, v17, v6, vcc
.LBB29_391:                             ;   in Loop: Header=BB29_382 Depth=1
	s_or_b64 exec, exec, s[22:23]
	s_waitcnt lgkmcnt(1)
	ds_bpermute_b32 v56, v47, v16
	s_waitcnt lgkmcnt(1)
	ds_bpermute_b32 v17, v47, v6
	v_cmp_le_u32_e32 vcc, v48, v8
	s_and_saveexec_b64 s[22:23], vcc
	s_cbranch_execz .LBB29_393
; %bb.392:                              ;   in Loop: Header=BB29_382 Depth=1
	s_waitcnt lgkmcnt(1)
	v_add_co_u32_e32 v16, vcc, v5, v56
	v_addc_co_u32_e32 v6, vcc, 0, v6, vcc
	v_add_co_u32_e32 v5, vcc, 0, v16
	s_waitcnt lgkmcnt(0)
	v_addc_co_u32_e32 v6, vcc, v17, v6, vcc
.LBB29_393:                             ;   in Loop: Header=BB29_382 Depth=1
	s_or_b64 exec, exec, s[22:23]
	s_waitcnt lgkmcnt(1)
	ds_bpermute_b32 v56, v49, v16
	s_waitcnt lgkmcnt(1)
	ds_bpermute_b32 v17, v49, v6
	v_cmp_le_u32_e32 vcc, v50, v8
	s_and_saveexec_b64 s[22:23], vcc
	s_cbranch_execz .LBB29_395
; %bb.394:                              ;   in Loop: Header=BB29_382 Depth=1
	s_waitcnt lgkmcnt(1)
	v_add_co_u32_e32 v16, vcc, v5, v56
	v_addc_co_u32_e32 v6, vcc, 0, v6, vcc
	v_add_co_u32_e32 v5, vcc, 0, v16
	s_waitcnt lgkmcnt(0)
	v_addc_co_u32_e32 v6, vcc, v17, v6, vcc
.LBB29_395:                             ;   in Loop: Header=BB29_382 Depth=1
	s_or_b64 exec, exec, s[22:23]
	s_waitcnt lgkmcnt(1)
	ds_bpermute_b32 v56, v51, v16
	s_waitcnt lgkmcnt(1)
	ds_bpermute_b32 v17, v51, v6
	v_cmp_le_u32_e32 vcc, v52, v8
	s_and_saveexec_b64 s[22:23], vcc
	s_cbranch_execz .LBB29_380
; %bb.396:                              ;   in Loop: Header=BB29_382 Depth=1
	s_waitcnt lgkmcnt(1)
	v_add_co_u32_e32 v16, vcc, v5, v56
	v_addc_co_u32_e32 v6, vcc, 0, v6, vcc
	v_add_co_u32_e32 v5, vcc, 0, v16
	s_waitcnt lgkmcnt(0)
	v_addc_co_u32_e32 v6, vcc, v17, v6, vcc
	s_branch .LBB29_380
.LBB29_397:
                                        ; implicit-def: $vgpr1_vgpr2
                                        ; implicit-def: $vgpr4_vgpr5
	s_and_b64 vcc, exec, s[4:5]
	s_cbranch_vccnz .LBB29_403
	s_branch .LBB29_424
.LBB29_398:
	s_and_saveexec_b64 s[22:23], s[2:3]
	s_cbranch_execz .LBB29_400
; %bb.399:
	s_add_i32 s6, s6, 64
	s_mov_b32 s7, 0
	s_lshl_b64 s[6:7], s[6:7], 4
	s_add_u32 s6, s12, s6
	s_addc_u32 s7, s13, s7
	v_add_co_u32_e32 v5, vcc, v3, v1
	v_mov_b32_e32 v13, s7
	v_addc_co_u32_e32 v6, vcc, v4, v2, vcc
	v_mov_b32_e32 v7, 2
	v_mov_b32_e32 v8, 0
	;; [unrolled: 1-line block ×3, first 2 shown]
	;;#ASMSTART
	global_store_dwordx4 v[12:13], v[5:8] off	
s_waitcnt vmcnt(0)
	;;#ASMEND
	ds_write_b128 v8, v[1:4] offset:32
.LBB29_400:
	s_or_b64 exec, exec, s[22:23]
	s_and_b64 exec, exec, s[0:1]
; %bb.401:
	v_mov_b32_e32 v1, 0
	ds_write_b64 v1, v[3:4] offset:24
.LBB29_402:
	s_or_b64 exec, exec, s[4:5]
	v_mov_b32_e32 v1, 0
	s_waitcnt lgkmcnt(0)
	s_barrier
	ds_read_b64 v[3:4], v1 offset:24
	s_waitcnt lgkmcnt(0)
	s_barrier
	ds_read_b64 v[1:2], v1 offset:40
	v_cndmask_b32_e64 v5, v42, v11, s[2:3]
	s_waitcnt lgkmcnt(0)
	v_cndmask_b32_e64 v2, v5, 0, s[0:1]
	v_add_co_u32_e32 v4, vcc, v3, v2
	s_branch .LBB29_424
.LBB29_403:
	v_mbcnt_hi_u32_b32 v5, -1, v41
	v_mov_b32_e32 v2, 0
	v_and_b32_e32 v6, 15, v5
	v_mov_b32_e32 v3, v9
	v_mov_b32_dpp v1, v9 row_shr:1 row_mask:0xf bank_mask:0xf
	v_mov_b32_dpp v7, v2 row_shr:1 row_mask:0xf bank_mask:0xf
	v_cmp_ne_u32_e32 vcc, 0, v6
	v_mov_b32_e32 v4, v10
	s_and_saveexec_b64 s[2:3], vcc
; %bb.404:
	v_add_co_u32_e32 v9, vcc, v1, v9
	v_addc_co_u32_e64 v2, s[4:5], 0, 0, vcc
	v_add_co_u32_e32 v1, vcc, 0, v9
	v_addc_co_u32_e32 v2, vcc, v7, v2, vcc
	v_mov_b32_e32 v4, v2
	v_mov_b32_e32 v3, v1
; %bb.405:
	s_or_b64 exec, exec, s[2:3]
	v_mov_b32_dpp v1, v9 row_shr:2 row_mask:0xf bank_mask:0xf
	v_mov_b32_dpp v7, v2 row_shr:2 row_mask:0xf bank_mask:0xf
	v_cmp_lt_u32_e32 vcc, 1, v6
	s_and_saveexec_b64 s[2:3], vcc
; %bb.406:
	v_add_co_u32_e32 v9, vcc, v3, v1
	v_addc_co_u32_e32 v2, vcc, 0, v4, vcc
	v_add_co_u32_e32 v1, vcc, 0, v9
	v_addc_co_u32_e32 v2, vcc, v7, v2, vcc
	v_mov_b32_e32 v4, v2
	v_mov_b32_e32 v3, v1
; %bb.407:
	s_or_b64 exec, exec, s[2:3]
	v_mov_b32_dpp v1, v9 row_shr:4 row_mask:0xf bank_mask:0xf
	v_mov_b32_dpp v7, v2 row_shr:4 row_mask:0xf bank_mask:0xf
	v_cmp_lt_u32_e32 vcc, 3, v6
	s_and_saveexec_b64 s[2:3], vcc
; %bb.408:
	v_add_co_u32_e32 v9, vcc, v3, v1
	v_addc_co_u32_e32 v2, vcc, 0, v4, vcc
	v_add_co_u32_e32 v1, vcc, 0, v9
	v_addc_co_u32_e32 v2, vcc, v7, v2, vcc
	v_mov_b32_e32 v4, v2
	v_mov_b32_e32 v3, v1
; %bb.409:
	s_or_b64 exec, exec, s[2:3]
	v_mov_b32_dpp v1, v9 row_shr:8 row_mask:0xf bank_mask:0xf
	v_mov_b32_dpp v7, v2 row_shr:8 row_mask:0xf bank_mask:0xf
	v_cmp_lt_u32_e32 vcc, 7, v6
	s_and_saveexec_b64 s[2:3], vcc
; %bb.410:
	v_add_co_u32_e32 v9, vcc, v3, v1
	v_addc_co_u32_e32 v2, vcc, 0, v4, vcc
	v_add_co_u32_e32 v1, vcc, 0, v9
	v_addc_co_u32_e32 v2, vcc, v7, v2, vcc
	v_mov_b32_e32 v4, v2
	v_mov_b32_e32 v3, v1
; %bb.411:
	s_or_b64 exec, exec, s[2:3]
	v_and_b32_e32 v7, 16, v5
	v_mov_b32_dpp v1, v9 row_bcast:15 row_mask:0xf bank_mask:0xf
	v_mov_b32_dpp v6, v2 row_bcast:15 row_mask:0xf bank_mask:0xf
	v_cmp_ne_u32_e32 vcc, 0, v7
	s_and_saveexec_b64 s[2:3], vcc
; %bb.412:
	v_add_co_u32_e32 v9, vcc, v3, v1
	v_addc_co_u32_e32 v2, vcc, 0, v4, vcc
	v_add_co_u32_e32 v1, vcc, 0, v9
	v_addc_co_u32_e32 v2, vcc, v6, v2, vcc
	v_mov_b32_e32 v4, v2
	v_mov_b32_e32 v3, v1
; %bb.413:
	s_or_b64 exec, exec, s[2:3]
	v_mov_b32_dpp v6, v9 row_bcast:31 row_mask:0xf bank_mask:0xf
	v_add_co_u32_e64 v6, s[2:3], v3, v6
	v_mov_b32_dpp v1, v2 row_bcast:31 row_mask:0xf bank_mask:0xf
	v_addc_co_u32_e64 v2, s[2:3], 0, v4, s[2:3]
	v_or_b32_e32 v8, 63, v0
	v_cmp_lt_u32_e32 vcc, 31, v5
	v_lshrrev_b32_e32 v7, 6, v0
	v_cmp_eq_u32_e64 s[2:3], v0, v8
	s_and_saveexec_b64 s[4:5], s[2:3]
	s_cbranch_execz .LBB29_415
; %bb.414:
	v_add_co_u32_e64 v10, s[2:3], 0, v6
	v_addc_co_u32_e64 v1, s[2:3], v1, v2, s[2:3]
	v_lshlrev_b32_e32 v8, 3, v7
	v_cndmask_b32_e32 v2, v4, v1, vcc
	v_cndmask_b32_e32 v1, v3, v10, vcc
	ds_write_b64 v8, v[1:2]
.LBB29_415:
	s_or_b64 exec, exec, s[4:5]
	v_cmp_gt_u32_e64 s[2:3], 4, v0
	s_waitcnt lgkmcnt(0)
	s_barrier
	s_and_saveexec_b64 s[4:5], s[2:3]
	s_cbranch_execz .LBB29_419
; %bb.416:
	v_add_u32_e32 v3, v24, v24
	ds_read_b64 v[1:2], v3
	v_and_b32_e32 v4, 3, v5
	v_cmp_ne_u32_e64 s[2:3], 0, v4
	s_waitcnt lgkmcnt(0)
	v_mov_b32_dpp v11, v1 row_shr:1 row_mask:0xf bank_mask:0xf
	v_mov_b32_dpp v10, v2 row_shr:1 row_mask:0xf bank_mask:0xf
	v_mov_b32_e32 v8, v1
	s_and_saveexec_b64 s[6:7], s[2:3]
; %bb.417:
	v_add_co_u32_e64 v8, s[2:3], v1, v11
	v_addc_co_u32_e64 v2, s[2:3], 0, v2, s[2:3]
	v_add_co_u32_e64 v1, s[2:3], 0, v8
	v_addc_co_u32_e64 v2, s[2:3], v10, v2, s[2:3]
; %bb.418:
	s_or_b64 exec, exec, s[6:7]
	v_mov_b32_dpp v8, v8 row_shr:2 row_mask:0xf bank_mask:0xf
	v_add_co_u32_e64 v8, s[2:3], v1, v8
	v_addc_co_u32_e64 v11, s[2:3], 0, v2, s[2:3]
	v_mov_b32_dpp v10, v2 row_shr:2 row_mask:0xf bank_mask:0xf
	v_add_co_u32_e64 v8, s[2:3], 0, v8
	v_addc_co_u32_e64 v10, s[2:3], v11, v10, s[2:3]
	v_cmp_lt_u32_e64 s[2:3], 1, v4
	v_cndmask_b32_e64 v2, v2, v10, s[2:3]
	v_cndmask_b32_e64 v1, v1, v8, s[2:3]
	ds_write_b64 v3, v[1:2]
.LBB29_419:
	s_or_b64 exec, exec, s[4:5]
	v_mov_b32_e32 v1, 0
	v_cmp_lt_u32_e64 s[2:3], 63, v0
	s_waitcnt lgkmcnt(0)
	s_barrier
	v_mov_b32_e32 v2, 0
	s_and_saveexec_b64 s[4:5], s[2:3]
; %bb.420:
	v_lshl_add_u32 v0, v7, 3, -8
	ds_read_b64 v[1:2], v0
; %bb.421:
	s_or_b64 exec, exec, s[4:5]
	v_cndmask_b32_e32 v0, v9, v6, vcc
	s_waitcnt lgkmcnt(0)
	v_subrev_co_u32_e32 v2, vcc, 1, v5
	v_and_b32_e32 v3, 64, v5
	v_cmp_lt_i32_e64 s[2:3], v2, v3
	v_cndmask_b32_e64 v2, v2, v5, s[2:3]
	v_add_u32_e32 v0, v0, v1
	v_lshlrev_b32_e32 v2, 2, v2
	ds_bpermute_b32 v0, v2, v0
	v_mov_b32_e32 v3, 0
	s_waitcnt lgkmcnt(0)
	v_cndmask_b32_e32 v4, v0, v1, vcc
	s_and_saveexec_b64 s[2:3], s[0:1]
	s_cbranch_execz .LBB29_423
; %bb.422:
	s_add_u32 s0, s12, 0x400
	s_addc_u32 s1, s13, 0
	v_mov_b32_e32 v6, s1
	ds_read_b64 v[0:1], v3 offset:24
	v_mov_b32_e32 v2, 2
	v_mov_b32_e32 v5, s0
	s_waitcnt lgkmcnt(0)
	;;#ASMSTART
	global_store_dwordx4 v[5:6], v[0:3] off	
s_waitcnt vmcnt(0)
	;;#ASMEND
.LBB29_423:
	s_or_b64 exec, exec, s[2:3]
	v_mov_b32_e32 v1, 0
	v_mov_b32_e32 v2, 0
.LBB29_424:
	s_xor_b64 s[0:1], s[8:9], -1
	s_xor_b64 s[2:3], s[10:11], -1
	;; [unrolled: 1-line block ×5, first 2 shown]
	v_sub_u32_e32 v0, v4, v1
	s_barrier
	s_and_saveexec_b64 s[10:11], s[18:19]
	s_cbranch_execnz .LBB29_452
; %bb.425:
	s_or_b64 exec, exec, s[10:11]
	s_and_saveexec_b64 s[10:11], s[8:9]
	s_cbranch_execnz .LBB29_453
.LBB29_426:
	s_or_b64 exec, exec, s[10:11]
	s_and_saveexec_b64 s[8:9], s[6:7]
	s_cbranch_execnz .LBB29_454
.LBB29_427:
	s_or_b64 exec, exec, s[8:9]
	s_and_saveexec_b64 s[6:7], s[4:5]
	s_cbranch_execnz .LBB29_455
.LBB29_428:
	s_or_b64 exec, exec, s[6:7]
	s_and_saveexec_b64 s[4:5], s[2:3]
	s_cbranch_execnz .LBB29_456
.LBB29_429:
	s_or_b64 exec, exec, s[4:5]
	s_and_saveexec_b64 s[2:3], s[0:1]
.LBB29_430:
	v_lshlrev_b32_e32 v1, 2, v0
	v_add_u32_e32 v0, 1, v0
	ds_write_b32 v1, v25 offset:1024
.LBB29_431:
	s_or_b64 exec, exec, s[2:3]
	v_and_b32_e32 v1, 64, v40
	v_cmp_ne_u32_e32 vcc, 0, v1
	s_and_saveexec_b64 s[0:1], vcc
; %bb.432:
	v_lshlrev_b32_e32 v1, 2, v0
	v_add_u32_e32 v0, 1, v0
	ds_write_b32 v1, v26 offset:1024
; %bb.433:
	s_or_b64 exec, exec, s[0:1]
	v_and_b32_e32 v1, 0x80, v39
	v_cmp_ne_u32_e32 vcc, 0, v1
	s_and_saveexec_b64 s[0:1], vcc
; %bb.434:
	v_lshlrev_b32_e32 v1, 2, v0
	v_add_u32_e32 v0, 1, v0
	ds_write_b32 v1, v27 offset:1024
; %bb.435:
	;; [unrolled: 9-line block ×9, first 2 shown]
	s_or_b64 exec, exec, s[0:1]
	v_and_b32_e32 v1, 0x8000, v18
	v_cmp_ne_u32_e32 vcc, 0, v1
	s_and_saveexec_b64 s[0:1], vcc
; %bb.450:
	v_lshlrev_b32_e32 v0, 2, v0
	ds_write_b32 v0, v35 offset:1024
; %bb.451:
	s_or_b64 exec, exec, s[0:1]
	s_waitcnt lgkmcnt(0)
	s_barrier
	s_endpgm
.LBB29_452:
	v_lshlrev_b32_e32 v1, 2, v0
	v_add_u32_e32 v0, 1, v0
	ds_write_b32 v1, v20 offset:1024
	s_or_b64 exec, exec, s[10:11]
	s_and_saveexec_b64 s[10:11], s[8:9]
	s_cbranch_execz .LBB29_426
.LBB29_453:
	v_lshlrev_b32_e32 v1, 2, v0
	v_add_u32_e32 v0, 1, v0
	ds_write_b32 v1, v19 offset:1024
	s_or_b64 exec, exec, s[10:11]
	s_and_saveexec_b64 s[8:9], s[6:7]
	s_cbranch_execz .LBB29_427
.LBB29_454:
	v_lshlrev_b32_e32 v1, 2, v0
	v_add_u32_e32 v0, 1, v0
	ds_write_b32 v1, v21 offset:1024
	s_or_b64 exec, exec, s[8:9]
	s_and_saveexec_b64 s[6:7], s[4:5]
	s_cbranch_execz .LBB29_428
.LBB29_455:
	v_lshlrev_b32_e32 v1, 2, v0
	v_add_u32_e32 v0, 1, v0
	ds_write_b32 v1, v22 offset:1024
	s_or_b64 exec, exec, s[6:7]
	s_and_saveexec_b64 s[4:5], s[2:3]
	s_cbranch_execz .LBB29_429
.LBB29_456:
	v_lshlrev_b32_e32 v1, 2, v0
	v_add_u32_e32 v0, 1, v0
	ds_write_b32 v1, v23 offset:1024
	s_or_b64 exec, exec, s[4:5]
	s_and_saveexec_b64 s[2:3], s[0:1]
	s_cbranch_execnz .LBB29_430
	s_branch .LBB29_431
	.section	.rodata,"a",@progbits
	.p2align	6, 0x0
	.amdhsa_kernel _ZN6thrust23THRUST_200600_302600_NS11hip_rocprim16__set_operations22lookback_set_op_kernelIN7rocprim17ROCPRIM_400000_NS13kernel_configILj256ELj16ELj4294967295EEELb0ENS0_6detail15normal_iteratorINS0_10device_ptrIKiEEEESD_PiSE_lNS0_16discard_iteratorINS0_11use_defaultEEESE_NS0_4lessIiEENS2_23serial_set_intersectionENS5_6detail19lookback_scan_stateIlLb0ELb1EEEEEvT1_T2_T3_T4_T6_T7_T8_T9_PNS0_4pairIT5_SX_EEPSX_T10_NSL_16ordered_block_idIjEE
		.amdhsa_group_segment_fixed_size 36868
		.amdhsa_private_segment_fixed_size 0
		.amdhsa_kernarg_size 352
		.amdhsa_user_sgpr_count 6
		.amdhsa_user_sgpr_private_segment_buffer 1
		.amdhsa_user_sgpr_dispatch_ptr 0
		.amdhsa_user_sgpr_queue_ptr 0
		.amdhsa_user_sgpr_kernarg_segment_ptr 1
		.amdhsa_user_sgpr_dispatch_id 0
		.amdhsa_user_sgpr_flat_scratch_init 0
		.amdhsa_user_sgpr_private_segment_size 0
		.amdhsa_uses_dynamic_stack 0
		.amdhsa_system_sgpr_private_segment_wavefront_offset 0
		.amdhsa_system_sgpr_workgroup_id_x 1
		.amdhsa_system_sgpr_workgroup_id_y 0
		.amdhsa_system_sgpr_workgroup_id_z 0
		.amdhsa_system_sgpr_workgroup_info 0
		.amdhsa_system_vgpr_workitem_id 2
		.amdhsa_next_free_vgpr 129
		.amdhsa_next_free_sgpr 98
		.amdhsa_reserve_vcc 1
		.amdhsa_reserve_flat_scratch 0
		.amdhsa_float_round_mode_32 0
		.amdhsa_float_round_mode_16_64 0
		.amdhsa_float_denorm_mode_32 3
		.amdhsa_float_denorm_mode_16_64 3
		.amdhsa_dx10_clamp 1
		.amdhsa_ieee_mode 1
		.amdhsa_fp16_overflow 0
		.amdhsa_exception_fp_ieee_invalid_op 0
		.amdhsa_exception_fp_denorm_src 0
		.amdhsa_exception_fp_ieee_div_zero 0
		.amdhsa_exception_fp_ieee_overflow 0
		.amdhsa_exception_fp_ieee_underflow 0
		.amdhsa_exception_fp_ieee_inexact 0
		.amdhsa_exception_int_div_zero 0
	.end_amdhsa_kernel
	.section	.text._ZN6thrust23THRUST_200600_302600_NS11hip_rocprim16__set_operations22lookback_set_op_kernelIN7rocprim17ROCPRIM_400000_NS13kernel_configILj256ELj16ELj4294967295EEELb0ENS0_6detail15normal_iteratorINS0_10device_ptrIKiEEEESD_PiSE_lNS0_16discard_iteratorINS0_11use_defaultEEESE_NS0_4lessIiEENS2_23serial_set_intersectionENS5_6detail19lookback_scan_stateIlLb0ELb1EEEEEvT1_T2_T3_T4_T6_T7_T8_T9_PNS0_4pairIT5_SX_EEPSX_T10_NSL_16ordered_block_idIjEE,"axG",@progbits,_ZN6thrust23THRUST_200600_302600_NS11hip_rocprim16__set_operations22lookback_set_op_kernelIN7rocprim17ROCPRIM_400000_NS13kernel_configILj256ELj16ELj4294967295EEELb0ENS0_6detail15normal_iteratorINS0_10device_ptrIKiEEEESD_PiSE_lNS0_16discard_iteratorINS0_11use_defaultEEESE_NS0_4lessIiEENS2_23serial_set_intersectionENS5_6detail19lookback_scan_stateIlLb0ELb1EEEEEvT1_T2_T3_T4_T6_T7_T8_T9_PNS0_4pairIT5_SX_EEPSX_T10_NSL_16ordered_block_idIjEE,comdat
.Lfunc_end29:
	.size	_ZN6thrust23THRUST_200600_302600_NS11hip_rocprim16__set_operations22lookback_set_op_kernelIN7rocprim17ROCPRIM_400000_NS13kernel_configILj256ELj16ELj4294967295EEELb0ENS0_6detail15normal_iteratorINS0_10device_ptrIKiEEEESD_PiSE_lNS0_16discard_iteratorINS0_11use_defaultEEESE_NS0_4lessIiEENS2_23serial_set_intersectionENS5_6detail19lookback_scan_stateIlLb0ELb1EEEEEvT1_T2_T3_T4_T6_T7_T8_T9_PNS0_4pairIT5_SX_EEPSX_T10_NSL_16ordered_block_idIjEE, .Lfunc_end29-_ZN6thrust23THRUST_200600_302600_NS11hip_rocprim16__set_operations22lookback_set_op_kernelIN7rocprim17ROCPRIM_400000_NS13kernel_configILj256ELj16ELj4294967295EEELb0ENS0_6detail15normal_iteratorINS0_10device_ptrIKiEEEESD_PiSE_lNS0_16discard_iteratorINS0_11use_defaultEEESE_NS0_4lessIiEENS2_23serial_set_intersectionENS5_6detail19lookback_scan_stateIlLb0ELb1EEEEEvT1_T2_T3_T4_T6_T7_T8_T9_PNS0_4pairIT5_SX_EEPSX_T10_NSL_16ordered_block_idIjEE
                                        ; -- End function
	.set _ZN6thrust23THRUST_200600_302600_NS11hip_rocprim16__set_operations22lookback_set_op_kernelIN7rocprim17ROCPRIM_400000_NS13kernel_configILj256ELj16ELj4294967295EEELb0ENS0_6detail15normal_iteratorINS0_10device_ptrIKiEEEESD_PiSE_lNS0_16discard_iteratorINS0_11use_defaultEEESE_NS0_4lessIiEENS2_23serial_set_intersectionENS5_6detail19lookback_scan_stateIlLb0ELb1EEEEEvT1_T2_T3_T4_T6_T7_T8_T9_PNS0_4pairIT5_SX_EEPSX_T10_NSL_16ordered_block_idIjEE.num_vgpr, 74
	.set _ZN6thrust23THRUST_200600_302600_NS11hip_rocprim16__set_operations22lookback_set_op_kernelIN7rocprim17ROCPRIM_400000_NS13kernel_configILj256ELj16ELj4294967295EEELb0ENS0_6detail15normal_iteratorINS0_10device_ptrIKiEEEESD_PiSE_lNS0_16discard_iteratorINS0_11use_defaultEEESE_NS0_4lessIiEENS2_23serial_set_intersectionENS5_6detail19lookback_scan_stateIlLb0ELb1EEEEEvT1_T2_T3_T4_T6_T7_T8_T9_PNS0_4pairIT5_SX_EEPSX_T10_NSL_16ordered_block_idIjEE.num_agpr, 0
	.set _ZN6thrust23THRUST_200600_302600_NS11hip_rocprim16__set_operations22lookback_set_op_kernelIN7rocprim17ROCPRIM_400000_NS13kernel_configILj256ELj16ELj4294967295EEELb0ENS0_6detail15normal_iteratorINS0_10device_ptrIKiEEEESD_PiSE_lNS0_16discard_iteratorINS0_11use_defaultEEESE_NS0_4lessIiEENS2_23serial_set_intersectionENS5_6detail19lookback_scan_stateIlLb0ELb1EEEEEvT1_T2_T3_T4_T6_T7_T8_T9_PNS0_4pairIT5_SX_EEPSX_T10_NSL_16ordered_block_idIjEE.numbered_sgpr, 30
	.set _ZN6thrust23THRUST_200600_302600_NS11hip_rocprim16__set_operations22lookback_set_op_kernelIN7rocprim17ROCPRIM_400000_NS13kernel_configILj256ELj16ELj4294967295EEELb0ENS0_6detail15normal_iteratorINS0_10device_ptrIKiEEEESD_PiSE_lNS0_16discard_iteratorINS0_11use_defaultEEESE_NS0_4lessIiEENS2_23serial_set_intersectionENS5_6detail19lookback_scan_stateIlLb0ELb1EEEEEvT1_T2_T3_T4_T6_T7_T8_T9_PNS0_4pairIT5_SX_EEPSX_T10_NSL_16ordered_block_idIjEE.num_named_barrier, 0
	.set _ZN6thrust23THRUST_200600_302600_NS11hip_rocprim16__set_operations22lookback_set_op_kernelIN7rocprim17ROCPRIM_400000_NS13kernel_configILj256ELj16ELj4294967295EEELb0ENS0_6detail15normal_iteratorINS0_10device_ptrIKiEEEESD_PiSE_lNS0_16discard_iteratorINS0_11use_defaultEEESE_NS0_4lessIiEENS2_23serial_set_intersectionENS5_6detail19lookback_scan_stateIlLb0ELb1EEEEEvT1_T2_T3_T4_T6_T7_T8_T9_PNS0_4pairIT5_SX_EEPSX_T10_NSL_16ordered_block_idIjEE.private_seg_size, 0
	.set _ZN6thrust23THRUST_200600_302600_NS11hip_rocprim16__set_operations22lookback_set_op_kernelIN7rocprim17ROCPRIM_400000_NS13kernel_configILj256ELj16ELj4294967295EEELb0ENS0_6detail15normal_iteratorINS0_10device_ptrIKiEEEESD_PiSE_lNS0_16discard_iteratorINS0_11use_defaultEEESE_NS0_4lessIiEENS2_23serial_set_intersectionENS5_6detail19lookback_scan_stateIlLb0ELb1EEEEEvT1_T2_T3_T4_T6_T7_T8_T9_PNS0_4pairIT5_SX_EEPSX_T10_NSL_16ordered_block_idIjEE.uses_vcc, 1
	.set _ZN6thrust23THRUST_200600_302600_NS11hip_rocprim16__set_operations22lookback_set_op_kernelIN7rocprim17ROCPRIM_400000_NS13kernel_configILj256ELj16ELj4294967295EEELb0ENS0_6detail15normal_iteratorINS0_10device_ptrIKiEEEESD_PiSE_lNS0_16discard_iteratorINS0_11use_defaultEEESE_NS0_4lessIiEENS2_23serial_set_intersectionENS5_6detail19lookback_scan_stateIlLb0ELb1EEEEEvT1_T2_T3_T4_T6_T7_T8_T9_PNS0_4pairIT5_SX_EEPSX_T10_NSL_16ordered_block_idIjEE.uses_flat_scratch, 0
	.set _ZN6thrust23THRUST_200600_302600_NS11hip_rocprim16__set_operations22lookback_set_op_kernelIN7rocprim17ROCPRIM_400000_NS13kernel_configILj256ELj16ELj4294967295EEELb0ENS0_6detail15normal_iteratorINS0_10device_ptrIKiEEEESD_PiSE_lNS0_16discard_iteratorINS0_11use_defaultEEESE_NS0_4lessIiEENS2_23serial_set_intersectionENS5_6detail19lookback_scan_stateIlLb0ELb1EEEEEvT1_T2_T3_T4_T6_T7_T8_T9_PNS0_4pairIT5_SX_EEPSX_T10_NSL_16ordered_block_idIjEE.has_dyn_sized_stack, 0
	.set _ZN6thrust23THRUST_200600_302600_NS11hip_rocprim16__set_operations22lookback_set_op_kernelIN7rocprim17ROCPRIM_400000_NS13kernel_configILj256ELj16ELj4294967295EEELb0ENS0_6detail15normal_iteratorINS0_10device_ptrIKiEEEESD_PiSE_lNS0_16discard_iteratorINS0_11use_defaultEEESE_NS0_4lessIiEENS2_23serial_set_intersectionENS5_6detail19lookback_scan_stateIlLb0ELb1EEEEEvT1_T2_T3_T4_T6_T7_T8_T9_PNS0_4pairIT5_SX_EEPSX_T10_NSL_16ordered_block_idIjEE.has_recursion, 0
	.set _ZN6thrust23THRUST_200600_302600_NS11hip_rocprim16__set_operations22lookback_set_op_kernelIN7rocprim17ROCPRIM_400000_NS13kernel_configILj256ELj16ELj4294967295EEELb0ENS0_6detail15normal_iteratorINS0_10device_ptrIKiEEEESD_PiSE_lNS0_16discard_iteratorINS0_11use_defaultEEESE_NS0_4lessIiEENS2_23serial_set_intersectionENS5_6detail19lookback_scan_stateIlLb0ELb1EEEEEvT1_T2_T3_T4_T6_T7_T8_T9_PNS0_4pairIT5_SX_EEPSX_T10_NSL_16ordered_block_idIjEE.has_indirect_call, 0
	.section	.AMDGPU.csdata,"",@progbits
; Kernel info:
; codeLenInByte = 16528
; TotalNumSgprs: 34
; NumVgprs: 74
; ScratchSize: 0
; MemoryBound: 0
; FloatMode: 240
; IeeeMode: 1
; LDSByteSize: 36868 bytes/workgroup (compile time only)
; SGPRBlocks: 12
; VGPRBlocks: 32
; NumSGPRsForWavesPerEU: 102
; NumVGPRsForWavesPerEU: 129
; Occupancy: 1
; WaveLimiterHint : 1
; COMPUTE_PGM_RSRC2:SCRATCH_EN: 0
; COMPUTE_PGM_RSRC2:USER_SGPR: 6
; COMPUTE_PGM_RSRC2:TRAP_HANDLER: 0
; COMPUTE_PGM_RSRC2:TGID_X_EN: 1
; COMPUTE_PGM_RSRC2:TGID_Y_EN: 0
; COMPUTE_PGM_RSRC2:TGID_Z_EN: 0
; COMPUTE_PGM_RSRC2:TIDIG_COMP_CNT: 2
	.section	.AMDGPU.gpr_maximums,"",@progbits
	.set amdgpu.max_num_vgpr, 0
	.set amdgpu.max_num_agpr, 0
	.set amdgpu.max_num_sgpr, 0
	.section	.AMDGPU.csdata,"",@progbits
	.type	__hip_cuid_adffb5f3a8fabd2b,@object ; @__hip_cuid_adffb5f3a8fabd2b
	.section	.bss,"aw",@nobits
	.globl	__hip_cuid_adffb5f3a8fabd2b
__hip_cuid_adffb5f3a8fabd2b:
	.byte	0                               ; 0x0
	.size	__hip_cuid_adffb5f3a8fabd2b, 1

	.ident	"AMD clang version 22.0.0git (https://github.com/RadeonOpenCompute/llvm-project roc-7.2.4 26084 f58b06dce1f9c15707c5f808fd002e18c2accf7e)"
	.section	".note.GNU-stack","",@progbits
	.addrsig
	.addrsig_sym __hip_cuid_adffb5f3a8fabd2b
	.amdgpu_metadata
---
amdhsa.kernels:
  - .args:
      - .offset:         0
        .size:           16
        .value_kind:     by_value
      - .offset:         16
        .size:           8
        .value_kind:     by_value
      - .offset:         24
        .size:           8
        .value_kind:     by_value
    .group_segment_fixed_size: 0
    .kernarg_segment_align: 8
    .kernarg_segment_size: 32
    .language:       OpenCL C
    .language_version:
      - 2
      - 0
    .max_flat_workgroup_size: 256
    .name:           _ZN6thrust23THRUST_200600_302600_NS11hip_rocprim14__parallel_for6kernelILj256ENS1_20__uninitialized_fill7functorINS0_10device_ptrIiEEiEEmLj1EEEvT0_T1_SA_
    .private_segment_fixed_size: 0
    .sgpr_count:     20
    .sgpr_spill_count: 0
    .symbol:         _ZN6thrust23THRUST_200600_302600_NS11hip_rocprim14__parallel_for6kernelILj256ENS1_20__uninitialized_fill7functorINS0_10device_ptrIiEEiEEmLj1EEEvT0_T1_SA_.kd
    .uniform_work_group_size: 1
    .uses_dynamic_stack: false
    .vgpr_count:     4
    .vgpr_spill_count: 0
    .wavefront_size: 64
  - .args:
      - .offset:         0
        .size:           48
        .value_kind:     by_value
    .group_segment_fixed_size: 0
    .kernarg_segment_align: 8
    .kernarg_segment_size: 48
    .language:       OpenCL C
    .language_version:
      - 2
      - 0
    .max_flat_workgroup_size: 256
    .name:           _ZN7rocprim17ROCPRIM_400000_NS6detail17trampoline_kernelINS0_14default_configENS1_21merge_config_selectorIiNS0_10empty_typeEEEZNS1_10merge_implIS3_N6thrust23THRUST_200600_302600_NS6detail15normal_iteratorINS9_10device_ptrIKiEEEESF_NSB_INSC_IiEEEEPS5_SI_SI_NS9_4lessIiEEEE10hipError_tPvRmT0_T1_T2_T3_T4_T5_mmT6_P12ihipStream_tbEUlT_E_NS1_11comp_targetILNS1_3genE0ELNS1_11target_archE4294967295ELNS1_3gpuE0ELNS1_3repE0EEENS1_30default_config_static_selectorELNS0_4arch9wavefront6targetE1EEEvSP_
    .private_segment_fixed_size: 0
    .sgpr_count:     4
    .sgpr_spill_count: 0
    .symbol:         _ZN7rocprim17ROCPRIM_400000_NS6detail17trampoline_kernelINS0_14default_configENS1_21merge_config_selectorIiNS0_10empty_typeEEEZNS1_10merge_implIS3_N6thrust23THRUST_200600_302600_NS6detail15normal_iteratorINS9_10device_ptrIKiEEEESF_NSB_INSC_IiEEEEPS5_SI_SI_NS9_4lessIiEEEE10hipError_tPvRmT0_T1_T2_T3_T4_T5_mmT6_P12ihipStream_tbEUlT_E_NS1_11comp_targetILNS1_3genE0ELNS1_11target_archE4294967295ELNS1_3gpuE0ELNS1_3repE0EEENS1_30default_config_static_selectorELNS0_4arch9wavefront6targetE1EEEvSP_.kd
    .uniform_work_group_size: 1
    .uses_dynamic_stack: false
    .vgpr_count:     0
    .vgpr_spill_count: 0
    .wavefront_size: 64
  - .args:
      - .offset:         0
        .size:           48
        .value_kind:     by_value
    .group_segment_fixed_size: 0
    .kernarg_segment_align: 8
    .kernarg_segment_size: 48
    .language:       OpenCL C
    .language_version:
      - 2
      - 0
    .max_flat_workgroup_size: 256
    .name:           _ZN7rocprim17ROCPRIM_400000_NS6detail17trampoline_kernelINS0_14default_configENS1_21merge_config_selectorIiNS0_10empty_typeEEEZNS1_10merge_implIS3_N6thrust23THRUST_200600_302600_NS6detail15normal_iteratorINS9_10device_ptrIKiEEEESF_NSB_INSC_IiEEEEPS5_SI_SI_NS9_4lessIiEEEE10hipError_tPvRmT0_T1_T2_T3_T4_T5_mmT6_P12ihipStream_tbEUlT_E_NS1_11comp_targetILNS1_3genE5ELNS1_11target_archE942ELNS1_3gpuE9ELNS1_3repE0EEENS1_30default_config_static_selectorELNS0_4arch9wavefront6targetE1EEEvSP_
    .private_segment_fixed_size: 0
    .sgpr_count:     4
    .sgpr_spill_count: 0
    .symbol:         _ZN7rocprim17ROCPRIM_400000_NS6detail17trampoline_kernelINS0_14default_configENS1_21merge_config_selectorIiNS0_10empty_typeEEEZNS1_10merge_implIS3_N6thrust23THRUST_200600_302600_NS6detail15normal_iteratorINS9_10device_ptrIKiEEEESF_NSB_INSC_IiEEEEPS5_SI_SI_NS9_4lessIiEEEE10hipError_tPvRmT0_T1_T2_T3_T4_T5_mmT6_P12ihipStream_tbEUlT_E_NS1_11comp_targetILNS1_3genE5ELNS1_11target_archE942ELNS1_3gpuE9ELNS1_3repE0EEENS1_30default_config_static_selectorELNS0_4arch9wavefront6targetE1EEEvSP_.kd
    .uniform_work_group_size: 1
    .uses_dynamic_stack: false
    .vgpr_count:     0
    .vgpr_spill_count: 0
    .wavefront_size: 64
  - .args:
      - .offset:         0
        .size:           48
        .value_kind:     by_value
    .group_segment_fixed_size: 0
    .kernarg_segment_align: 8
    .kernarg_segment_size: 48
    .language:       OpenCL C
    .language_version:
      - 2
      - 0
    .max_flat_workgroup_size: 256
    .name:           _ZN7rocprim17ROCPRIM_400000_NS6detail17trampoline_kernelINS0_14default_configENS1_21merge_config_selectorIiNS0_10empty_typeEEEZNS1_10merge_implIS3_N6thrust23THRUST_200600_302600_NS6detail15normal_iteratorINS9_10device_ptrIKiEEEESF_NSB_INSC_IiEEEEPS5_SI_SI_NS9_4lessIiEEEE10hipError_tPvRmT0_T1_T2_T3_T4_T5_mmT6_P12ihipStream_tbEUlT_E_NS1_11comp_targetILNS1_3genE4ELNS1_11target_archE910ELNS1_3gpuE8ELNS1_3repE0EEENS1_30default_config_static_selectorELNS0_4arch9wavefront6targetE1EEEvSP_
    .private_segment_fixed_size: 0
    .sgpr_count:     4
    .sgpr_spill_count: 0
    .symbol:         _ZN7rocprim17ROCPRIM_400000_NS6detail17trampoline_kernelINS0_14default_configENS1_21merge_config_selectorIiNS0_10empty_typeEEEZNS1_10merge_implIS3_N6thrust23THRUST_200600_302600_NS6detail15normal_iteratorINS9_10device_ptrIKiEEEESF_NSB_INSC_IiEEEEPS5_SI_SI_NS9_4lessIiEEEE10hipError_tPvRmT0_T1_T2_T3_T4_T5_mmT6_P12ihipStream_tbEUlT_E_NS1_11comp_targetILNS1_3genE4ELNS1_11target_archE910ELNS1_3gpuE8ELNS1_3repE0EEENS1_30default_config_static_selectorELNS0_4arch9wavefront6targetE1EEEvSP_.kd
    .uniform_work_group_size: 1
    .uses_dynamic_stack: false
    .vgpr_count:     0
    .vgpr_spill_count: 0
    .wavefront_size: 64
  - .args:
      - .offset:         0
        .size:           48
        .value_kind:     by_value
    .group_segment_fixed_size: 0
    .kernarg_segment_align: 8
    .kernarg_segment_size: 48
    .language:       OpenCL C
    .language_version:
      - 2
      - 0
    .max_flat_workgroup_size: 256
    .name:           _ZN7rocprim17ROCPRIM_400000_NS6detail17trampoline_kernelINS0_14default_configENS1_21merge_config_selectorIiNS0_10empty_typeEEEZNS1_10merge_implIS3_N6thrust23THRUST_200600_302600_NS6detail15normal_iteratorINS9_10device_ptrIKiEEEESF_NSB_INSC_IiEEEEPS5_SI_SI_NS9_4lessIiEEEE10hipError_tPvRmT0_T1_T2_T3_T4_T5_mmT6_P12ihipStream_tbEUlT_E_NS1_11comp_targetILNS1_3genE3ELNS1_11target_archE908ELNS1_3gpuE7ELNS1_3repE0EEENS1_30default_config_static_selectorELNS0_4arch9wavefront6targetE1EEEvSP_
    .private_segment_fixed_size: 0
    .sgpr_count:     4
    .sgpr_spill_count: 0
    .symbol:         _ZN7rocprim17ROCPRIM_400000_NS6detail17trampoline_kernelINS0_14default_configENS1_21merge_config_selectorIiNS0_10empty_typeEEEZNS1_10merge_implIS3_N6thrust23THRUST_200600_302600_NS6detail15normal_iteratorINS9_10device_ptrIKiEEEESF_NSB_INSC_IiEEEEPS5_SI_SI_NS9_4lessIiEEEE10hipError_tPvRmT0_T1_T2_T3_T4_T5_mmT6_P12ihipStream_tbEUlT_E_NS1_11comp_targetILNS1_3genE3ELNS1_11target_archE908ELNS1_3gpuE7ELNS1_3repE0EEENS1_30default_config_static_selectorELNS0_4arch9wavefront6targetE1EEEvSP_.kd
    .uniform_work_group_size: 1
    .uses_dynamic_stack: false
    .vgpr_count:     0
    .vgpr_spill_count: 0
    .wavefront_size: 64
  - .args:
      - .offset:         0
        .size:           48
        .value_kind:     by_value
      - .offset:         48
        .size:           4
        .value_kind:     hidden_block_count_x
      - .offset:         52
        .size:           4
        .value_kind:     hidden_block_count_y
      - .offset:         56
        .size:           4
        .value_kind:     hidden_block_count_z
      - .offset:         60
        .size:           2
        .value_kind:     hidden_group_size_x
      - .offset:         62
        .size:           2
        .value_kind:     hidden_group_size_y
      - .offset:         64
        .size:           2
        .value_kind:     hidden_group_size_z
      - .offset:         66
        .size:           2
        .value_kind:     hidden_remainder_x
      - .offset:         68
        .size:           2
        .value_kind:     hidden_remainder_y
      - .offset:         70
        .size:           2
        .value_kind:     hidden_remainder_z
      - .offset:         88
        .size:           8
        .value_kind:     hidden_global_offset_x
      - .offset:         96
        .size:           8
        .value_kind:     hidden_global_offset_y
      - .offset:         104
        .size:           8
        .value_kind:     hidden_global_offset_z
      - .offset:         112
        .size:           2
        .value_kind:     hidden_grid_dims
    .group_segment_fixed_size: 0
    .kernarg_segment_align: 8
    .kernarg_segment_size: 304
    .language:       OpenCL C
    .language_version:
      - 2
      - 0
    .max_flat_workgroup_size: 256
    .name:           _ZN7rocprim17ROCPRIM_400000_NS6detail17trampoline_kernelINS0_14default_configENS1_21merge_config_selectorIiNS0_10empty_typeEEEZNS1_10merge_implIS3_N6thrust23THRUST_200600_302600_NS6detail15normal_iteratorINS9_10device_ptrIKiEEEESF_NSB_INSC_IiEEEEPS5_SI_SI_NS9_4lessIiEEEE10hipError_tPvRmT0_T1_T2_T3_T4_T5_mmT6_P12ihipStream_tbEUlT_E_NS1_11comp_targetILNS1_3genE2ELNS1_11target_archE906ELNS1_3gpuE6ELNS1_3repE0EEENS1_30default_config_static_selectorELNS0_4arch9wavefront6targetE1EEEvSP_
    .private_segment_fixed_size: 0
    .sgpr_count:     21
    .sgpr_spill_count: 0
    .symbol:         _ZN7rocprim17ROCPRIM_400000_NS6detail17trampoline_kernelINS0_14default_configENS1_21merge_config_selectorIiNS0_10empty_typeEEEZNS1_10merge_implIS3_N6thrust23THRUST_200600_302600_NS6detail15normal_iteratorINS9_10device_ptrIKiEEEESF_NSB_INSC_IiEEEEPS5_SI_SI_NS9_4lessIiEEEE10hipError_tPvRmT0_T1_T2_T3_T4_T5_mmT6_P12ihipStream_tbEUlT_E_NS1_11comp_targetILNS1_3genE2ELNS1_11target_archE906ELNS1_3gpuE6ELNS1_3repE0EEENS1_30default_config_static_selectorELNS0_4arch9wavefront6targetE1EEEvSP_.kd
    .uniform_work_group_size: 1
    .uses_dynamic_stack: false
    .vgpr_count:     13
    .vgpr_spill_count: 0
    .wavefront_size: 64
  - .args:
      - .offset:         0
        .size:           48
        .value_kind:     by_value
    .group_segment_fixed_size: 0
    .kernarg_segment_align: 8
    .kernarg_segment_size: 48
    .language:       OpenCL C
    .language_version:
      - 2
      - 0
    .max_flat_workgroup_size: 1024
    .name:           _ZN7rocprim17ROCPRIM_400000_NS6detail17trampoline_kernelINS0_14default_configENS1_21merge_config_selectorIiNS0_10empty_typeEEEZNS1_10merge_implIS3_N6thrust23THRUST_200600_302600_NS6detail15normal_iteratorINS9_10device_ptrIKiEEEESF_NSB_INSC_IiEEEEPS5_SI_SI_NS9_4lessIiEEEE10hipError_tPvRmT0_T1_T2_T3_T4_T5_mmT6_P12ihipStream_tbEUlT_E_NS1_11comp_targetILNS1_3genE10ELNS1_11target_archE1201ELNS1_3gpuE5ELNS1_3repE0EEENS1_30default_config_static_selectorELNS0_4arch9wavefront6targetE1EEEvSP_
    .private_segment_fixed_size: 0
    .sgpr_count:     4
    .sgpr_spill_count: 0
    .symbol:         _ZN7rocprim17ROCPRIM_400000_NS6detail17trampoline_kernelINS0_14default_configENS1_21merge_config_selectorIiNS0_10empty_typeEEEZNS1_10merge_implIS3_N6thrust23THRUST_200600_302600_NS6detail15normal_iteratorINS9_10device_ptrIKiEEEESF_NSB_INSC_IiEEEEPS5_SI_SI_NS9_4lessIiEEEE10hipError_tPvRmT0_T1_T2_T3_T4_T5_mmT6_P12ihipStream_tbEUlT_E_NS1_11comp_targetILNS1_3genE10ELNS1_11target_archE1201ELNS1_3gpuE5ELNS1_3repE0EEENS1_30default_config_static_selectorELNS0_4arch9wavefront6targetE1EEEvSP_.kd
    .uniform_work_group_size: 1
    .uses_dynamic_stack: false
    .vgpr_count:     0
    .vgpr_spill_count: 0
    .wavefront_size: 64
  - .args:
      - .offset:         0
        .size:           48
        .value_kind:     by_value
    .group_segment_fixed_size: 0
    .kernarg_segment_align: 8
    .kernarg_segment_size: 48
    .language:       OpenCL C
    .language_version:
      - 2
      - 0
    .max_flat_workgroup_size: 1024
    .name:           _ZN7rocprim17ROCPRIM_400000_NS6detail17trampoline_kernelINS0_14default_configENS1_21merge_config_selectorIiNS0_10empty_typeEEEZNS1_10merge_implIS3_N6thrust23THRUST_200600_302600_NS6detail15normal_iteratorINS9_10device_ptrIKiEEEESF_NSB_INSC_IiEEEEPS5_SI_SI_NS9_4lessIiEEEE10hipError_tPvRmT0_T1_T2_T3_T4_T5_mmT6_P12ihipStream_tbEUlT_E_NS1_11comp_targetILNS1_3genE10ELNS1_11target_archE1200ELNS1_3gpuE4ELNS1_3repE0EEENS1_30default_config_static_selectorELNS0_4arch9wavefront6targetE1EEEvSP_
    .private_segment_fixed_size: 0
    .sgpr_count:     4
    .sgpr_spill_count: 0
    .symbol:         _ZN7rocprim17ROCPRIM_400000_NS6detail17trampoline_kernelINS0_14default_configENS1_21merge_config_selectorIiNS0_10empty_typeEEEZNS1_10merge_implIS3_N6thrust23THRUST_200600_302600_NS6detail15normal_iteratorINS9_10device_ptrIKiEEEESF_NSB_INSC_IiEEEEPS5_SI_SI_NS9_4lessIiEEEE10hipError_tPvRmT0_T1_T2_T3_T4_T5_mmT6_P12ihipStream_tbEUlT_E_NS1_11comp_targetILNS1_3genE10ELNS1_11target_archE1200ELNS1_3gpuE4ELNS1_3repE0EEENS1_30default_config_static_selectorELNS0_4arch9wavefront6targetE1EEEvSP_.kd
    .uniform_work_group_size: 1
    .uses_dynamic_stack: false
    .vgpr_count:     0
    .vgpr_spill_count: 0
    .wavefront_size: 64
  - .args:
      - .offset:         0
        .size:           48
        .value_kind:     by_value
    .group_segment_fixed_size: 0
    .kernarg_segment_align: 8
    .kernarg_segment_size: 48
    .language:       OpenCL C
    .language_version:
      - 2
      - 0
    .max_flat_workgroup_size: 1024
    .name:           _ZN7rocprim17ROCPRIM_400000_NS6detail17trampoline_kernelINS0_14default_configENS1_21merge_config_selectorIiNS0_10empty_typeEEEZNS1_10merge_implIS3_N6thrust23THRUST_200600_302600_NS6detail15normal_iteratorINS9_10device_ptrIKiEEEESF_NSB_INSC_IiEEEEPS5_SI_SI_NS9_4lessIiEEEE10hipError_tPvRmT0_T1_T2_T3_T4_T5_mmT6_P12ihipStream_tbEUlT_E_NS1_11comp_targetILNS1_3genE9ELNS1_11target_archE1100ELNS1_3gpuE3ELNS1_3repE0EEENS1_30default_config_static_selectorELNS0_4arch9wavefront6targetE1EEEvSP_
    .private_segment_fixed_size: 0
    .sgpr_count:     4
    .sgpr_spill_count: 0
    .symbol:         _ZN7rocprim17ROCPRIM_400000_NS6detail17trampoline_kernelINS0_14default_configENS1_21merge_config_selectorIiNS0_10empty_typeEEEZNS1_10merge_implIS3_N6thrust23THRUST_200600_302600_NS6detail15normal_iteratorINS9_10device_ptrIKiEEEESF_NSB_INSC_IiEEEEPS5_SI_SI_NS9_4lessIiEEEE10hipError_tPvRmT0_T1_T2_T3_T4_T5_mmT6_P12ihipStream_tbEUlT_E_NS1_11comp_targetILNS1_3genE9ELNS1_11target_archE1100ELNS1_3gpuE3ELNS1_3repE0EEENS1_30default_config_static_selectorELNS0_4arch9wavefront6targetE1EEEvSP_.kd
    .uniform_work_group_size: 1
    .uses_dynamic_stack: false
    .vgpr_count:     0
    .vgpr_spill_count: 0
    .wavefront_size: 64
  - .args:
      - .offset:         0
        .size:           48
        .value_kind:     by_value
    .group_segment_fixed_size: 0
    .kernarg_segment_align: 8
    .kernarg_segment_size: 48
    .language:       OpenCL C
    .language_version:
      - 2
      - 0
    .max_flat_workgroup_size: 1024
    .name:           _ZN7rocprim17ROCPRIM_400000_NS6detail17trampoline_kernelINS0_14default_configENS1_21merge_config_selectorIiNS0_10empty_typeEEEZNS1_10merge_implIS3_N6thrust23THRUST_200600_302600_NS6detail15normal_iteratorINS9_10device_ptrIKiEEEESF_NSB_INSC_IiEEEEPS5_SI_SI_NS9_4lessIiEEEE10hipError_tPvRmT0_T1_T2_T3_T4_T5_mmT6_P12ihipStream_tbEUlT_E_NS1_11comp_targetILNS1_3genE8ELNS1_11target_archE1030ELNS1_3gpuE2ELNS1_3repE0EEENS1_30default_config_static_selectorELNS0_4arch9wavefront6targetE1EEEvSP_
    .private_segment_fixed_size: 0
    .sgpr_count:     4
    .sgpr_spill_count: 0
    .symbol:         _ZN7rocprim17ROCPRIM_400000_NS6detail17trampoline_kernelINS0_14default_configENS1_21merge_config_selectorIiNS0_10empty_typeEEEZNS1_10merge_implIS3_N6thrust23THRUST_200600_302600_NS6detail15normal_iteratorINS9_10device_ptrIKiEEEESF_NSB_INSC_IiEEEEPS5_SI_SI_NS9_4lessIiEEEE10hipError_tPvRmT0_T1_T2_T3_T4_T5_mmT6_P12ihipStream_tbEUlT_E_NS1_11comp_targetILNS1_3genE8ELNS1_11target_archE1030ELNS1_3gpuE2ELNS1_3repE0EEENS1_30default_config_static_selectorELNS0_4arch9wavefront6targetE1EEEvSP_.kd
    .uniform_work_group_size: 1
    .uses_dynamic_stack: false
    .vgpr_count:     0
    .vgpr_spill_count: 0
    .wavefront_size: 64
  - .args:
      - .offset:         0
        .size:           88
        .value_kind:     by_value
    .group_segment_fixed_size: 0
    .kernarg_segment_align: 8
    .kernarg_segment_size: 88
    .language:       OpenCL C
    .language_version:
      - 2
      - 0
    .max_flat_workgroup_size: 256
    .name:           _ZN7rocprim17ROCPRIM_400000_NS6detail17trampoline_kernelINS0_14default_configENS1_21merge_config_selectorIiNS0_10empty_typeEEEZNS1_10merge_implIS3_N6thrust23THRUST_200600_302600_NS6detail15normal_iteratorINS9_10device_ptrIKiEEEESF_NSB_INSC_IiEEEEPS5_SI_SI_NS9_4lessIiEEEE10hipError_tPvRmT0_T1_T2_T3_T4_T5_mmT6_P12ihipStream_tbEUlT_E0_NS1_11comp_targetILNS1_3genE0ELNS1_11target_archE4294967295ELNS1_3gpuE0ELNS1_3repE0EEENS1_30default_config_static_selectorELNS0_4arch9wavefront6targetE1EEEvSP_
    .private_segment_fixed_size: 0
    .sgpr_count:     4
    .sgpr_spill_count: 0
    .symbol:         _ZN7rocprim17ROCPRIM_400000_NS6detail17trampoline_kernelINS0_14default_configENS1_21merge_config_selectorIiNS0_10empty_typeEEEZNS1_10merge_implIS3_N6thrust23THRUST_200600_302600_NS6detail15normal_iteratorINS9_10device_ptrIKiEEEESF_NSB_INSC_IiEEEEPS5_SI_SI_NS9_4lessIiEEEE10hipError_tPvRmT0_T1_T2_T3_T4_T5_mmT6_P12ihipStream_tbEUlT_E0_NS1_11comp_targetILNS1_3genE0ELNS1_11target_archE4294967295ELNS1_3gpuE0ELNS1_3repE0EEENS1_30default_config_static_selectorELNS0_4arch9wavefront6targetE1EEEvSP_.kd
    .uniform_work_group_size: 1
    .uses_dynamic_stack: false
    .vgpr_count:     0
    .vgpr_spill_count: 0
    .wavefront_size: 64
  - .args:
      - .offset:         0
        .size:           88
        .value_kind:     by_value
    .group_segment_fixed_size: 0
    .kernarg_segment_align: 8
    .kernarg_segment_size: 88
    .language:       OpenCL C
    .language_version:
      - 2
      - 0
    .max_flat_workgroup_size: 256
    .name:           _ZN7rocprim17ROCPRIM_400000_NS6detail17trampoline_kernelINS0_14default_configENS1_21merge_config_selectorIiNS0_10empty_typeEEEZNS1_10merge_implIS3_N6thrust23THRUST_200600_302600_NS6detail15normal_iteratorINS9_10device_ptrIKiEEEESF_NSB_INSC_IiEEEEPS5_SI_SI_NS9_4lessIiEEEE10hipError_tPvRmT0_T1_T2_T3_T4_T5_mmT6_P12ihipStream_tbEUlT_E0_NS1_11comp_targetILNS1_3genE5ELNS1_11target_archE942ELNS1_3gpuE9ELNS1_3repE0EEENS1_30default_config_static_selectorELNS0_4arch9wavefront6targetE1EEEvSP_
    .private_segment_fixed_size: 0
    .sgpr_count:     4
    .sgpr_spill_count: 0
    .symbol:         _ZN7rocprim17ROCPRIM_400000_NS6detail17trampoline_kernelINS0_14default_configENS1_21merge_config_selectorIiNS0_10empty_typeEEEZNS1_10merge_implIS3_N6thrust23THRUST_200600_302600_NS6detail15normal_iteratorINS9_10device_ptrIKiEEEESF_NSB_INSC_IiEEEEPS5_SI_SI_NS9_4lessIiEEEE10hipError_tPvRmT0_T1_T2_T3_T4_T5_mmT6_P12ihipStream_tbEUlT_E0_NS1_11comp_targetILNS1_3genE5ELNS1_11target_archE942ELNS1_3gpuE9ELNS1_3repE0EEENS1_30default_config_static_selectorELNS0_4arch9wavefront6targetE1EEEvSP_.kd
    .uniform_work_group_size: 1
    .uses_dynamic_stack: false
    .vgpr_count:     0
    .vgpr_spill_count: 0
    .wavefront_size: 64
  - .args:
      - .offset:         0
        .size:           88
        .value_kind:     by_value
    .group_segment_fixed_size: 0
    .kernarg_segment_align: 8
    .kernarg_segment_size: 88
    .language:       OpenCL C
    .language_version:
      - 2
      - 0
    .max_flat_workgroup_size: 256
    .name:           _ZN7rocprim17ROCPRIM_400000_NS6detail17trampoline_kernelINS0_14default_configENS1_21merge_config_selectorIiNS0_10empty_typeEEEZNS1_10merge_implIS3_N6thrust23THRUST_200600_302600_NS6detail15normal_iteratorINS9_10device_ptrIKiEEEESF_NSB_INSC_IiEEEEPS5_SI_SI_NS9_4lessIiEEEE10hipError_tPvRmT0_T1_T2_T3_T4_T5_mmT6_P12ihipStream_tbEUlT_E0_NS1_11comp_targetILNS1_3genE4ELNS1_11target_archE910ELNS1_3gpuE8ELNS1_3repE0EEENS1_30default_config_static_selectorELNS0_4arch9wavefront6targetE1EEEvSP_
    .private_segment_fixed_size: 0
    .sgpr_count:     4
    .sgpr_spill_count: 0
    .symbol:         _ZN7rocprim17ROCPRIM_400000_NS6detail17trampoline_kernelINS0_14default_configENS1_21merge_config_selectorIiNS0_10empty_typeEEEZNS1_10merge_implIS3_N6thrust23THRUST_200600_302600_NS6detail15normal_iteratorINS9_10device_ptrIKiEEEESF_NSB_INSC_IiEEEEPS5_SI_SI_NS9_4lessIiEEEE10hipError_tPvRmT0_T1_T2_T3_T4_T5_mmT6_P12ihipStream_tbEUlT_E0_NS1_11comp_targetILNS1_3genE4ELNS1_11target_archE910ELNS1_3gpuE8ELNS1_3repE0EEENS1_30default_config_static_selectorELNS0_4arch9wavefront6targetE1EEEvSP_.kd
    .uniform_work_group_size: 1
    .uses_dynamic_stack: false
    .vgpr_count:     0
    .vgpr_spill_count: 0
    .wavefront_size: 64
  - .args:
      - .offset:         0
        .size:           88
        .value_kind:     by_value
    .group_segment_fixed_size: 0
    .kernarg_segment_align: 8
    .kernarg_segment_size: 88
    .language:       OpenCL C
    .language_version:
      - 2
      - 0
    .max_flat_workgroup_size: 256
    .name:           _ZN7rocprim17ROCPRIM_400000_NS6detail17trampoline_kernelINS0_14default_configENS1_21merge_config_selectorIiNS0_10empty_typeEEEZNS1_10merge_implIS3_N6thrust23THRUST_200600_302600_NS6detail15normal_iteratorINS9_10device_ptrIKiEEEESF_NSB_INSC_IiEEEEPS5_SI_SI_NS9_4lessIiEEEE10hipError_tPvRmT0_T1_T2_T3_T4_T5_mmT6_P12ihipStream_tbEUlT_E0_NS1_11comp_targetILNS1_3genE3ELNS1_11target_archE908ELNS1_3gpuE7ELNS1_3repE0EEENS1_30default_config_static_selectorELNS0_4arch9wavefront6targetE1EEEvSP_
    .private_segment_fixed_size: 0
    .sgpr_count:     4
    .sgpr_spill_count: 0
    .symbol:         _ZN7rocprim17ROCPRIM_400000_NS6detail17trampoline_kernelINS0_14default_configENS1_21merge_config_selectorIiNS0_10empty_typeEEEZNS1_10merge_implIS3_N6thrust23THRUST_200600_302600_NS6detail15normal_iteratorINS9_10device_ptrIKiEEEESF_NSB_INSC_IiEEEEPS5_SI_SI_NS9_4lessIiEEEE10hipError_tPvRmT0_T1_T2_T3_T4_T5_mmT6_P12ihipStream_tbEUlT_E0_NS1_11comp_targetILNS1_3genE3ELNS1_11target_archE908ELNS1_3gpuE7ELNS1_3repE0EEENS1_30default_config_static_selectorELNS0_4arch9wavefront6targetE1EEEvSP_.kd
    .uniform_work_group_size: 1
    .uses_dynamic_stack: false
    .vgpr_count:     0
    .vgpr_spill_count: 0
    .wavefront_size: 64
  - .args:
      - .offset:         0
        .size:           88
        .value_kind:     by_value
    .group_segment_fixed_size: 10256
    .kernarg_segment_align: 8
    .kernarg_segment_size: 88
    .language:       OpenCL C
    .language_version:
      - 2
      - 0
    .max_flat_workgroup_size: 256
    .name:           _ZN7rocprim17ROCPRIM_400000_NS6detail17trampoline_kernelINS0_14default_configENS1_21merge_config_selectorIiNS0_10empty_typeEEEZNS1_10merge_implIS3_N6thrust23THRUST_200600_302600_NS6detail15normal_iteratorINS9_10device_ptrIKiEEEESF_NSB_INSC_IiEEEEPS5_SI_SI_NS9_4lessIiEEEE10hipError_tPvRmT0_T1_T2_T3_T4_T5_mmT6_P12ihipStream_tbEUlT_E0_NS1_11comp_targetILNS1_3genE2ELNS1_11target_archE906ELNS1_3gpuE6ELNS1_3repE0EEENS1_30default_config_static_selectorELNS0_4arch9wavefront6targetE1EEEvSP_
    .private_segment_fixed_size: 0
    .sgpr_count:     28
    .sgpr_spill_count: 0
    .symbol:         _ZN7rocprim17ROCPRIM_400000_NS6detail17trampoline_kernelINS0_14default_configENS1_21merge_config_selectorIiNS0_10empty_typeEEEZNS1_10merge_implIS3_N6thrust23THRUST_200600_302600_NS6detail15normal_iteratorINS9_10device_ptrIKiEEEESF_NSB_INSC_IiEEEEPS5_SI_SI_NS9_4lessIiEEEE10hipError_tPvRmT0_T1_T2_T3_T4_T5_mmT6_P12ihipStream_tbEUlT_E0_NS1_11comp_targetILNS1_3genE2ELNS1_11target_archE906ELNS1_3gpuE6ELNS1_3repE0EEENS1_30default_config_static_selectorELNS0_4arch9wavefront6targetE1EEEvSP_.kd
    .uniform_work_group_size: 1
    .uses_dynamic_stack: false
    .vgpr_count:     34
    .vgpr_spill_count: 0
    .wavefront_size: 64
  - .args:
      - .offset:         0
        .size:           88
        .value_kind:     by_value
    .group_segment_fixed_size: 0
    .kernarg_segment_align: 8
    .kernarg_segment_size: 88
    .language:       OpenCL C
    .language_version:
      - 2
      - 0
    .max_flat_workgroup_size: 1024
    .name:           _ZN7rocprim17ROCPRIM_400000_NS6detail17trampoline_kernelINS0_14default_configENS1_21merge_config_selectorIiNS0_10empty_typeEEEZNS1_10merge_implIS3_N6thrust23THRUST_200600_302600_NS6detail15normal_iteratorINS9_10device_ptrIKiEEEESF_NSB_INSC_IiEEEEPS5_SI_SI_NS9_4lessIiEEEE10hipError_tPvRmT0_T1_T2_T3_T4_T5_mmT6_P12ihipStream_tbEUlT_E0_NS1_11comp_targetILNS1_3genE10ELNS1_11target_archE1201ELNS1_3gpuE5ELNS1_3repE0EEENS1_30default_config_static_selectorELNS0_4arch9wavefront6targetE1EEEvSP_
    .private_segment_fixed_size: 0
    .sgpr_count:     4
    .sgpr_spill_count: 0
    .symbol:         _ZN7rocprim17ROCPRIM_400000_NS6detail17trampoline_kernelINS0_14default_configENS1_21merge_config_selectorIiNS0_10empty_typeEEEZNS1_10merge_implIS3_N6thrust23THRUST_200600_302600_NS6detail15normal_iteratorINS9_10device_ptrIKiEEEESF_NSB_INSC_IiEEEEPS5_SI_SI_NS9_4lessIiEEEE10hipError_tPvRmT0_T1_T2_T3_T4_T5_mmT6_P12ihipStream_tbEUlT_E0_NS1_11comp_targetILNS1_3genE10ELNS1_11target_archE1201ELNS1_3gpuE5ELNS1_3repE0EEENS1_30default_config_static_selectorELNS0_4arch9wavefront6targetE1EEEvSP_.kd
    .uniform_work_group_size: 1
    .uses_dynamic_stack: false
    .vgpr_count:     0
    .vgpr_spill_count: 0
    .wavefront_size: 64
  - .args:
      - .offset:         0
        .size:           88
        .value_kind:     by_value
    .group_segment_fixed_size: 0
    .kernarg_segment_align: 8
    .kernarg_segment_size: 88
    .language:       OpenCL C
    .language_version:
      - 2
      - 0
    .max_flat_workgroup_size: 1024
    .name:           _ZN7rocprim17ROCPRIM_400000_NS6detail17trampoline_kernelINS0_14default_configENS1_21merge_config_selectorIiNS0_10empty_typeEEEZNS1_10merge_implIS3_N6thrust23THRUST_200600_302600_NS6detail15normal_iteratorINS9_10device_ptrIKiEEEESF_NSB_INSC_IiEEEEPS5_SI_SI_NS9_4lessIiEEEE10hipError_tPvRmT0_T1_T2_T3_T4_T5_mmT6_P12ihipStream_tbEUlT_E0_NS1_11comp_targetILNS1_3genE10ELNS1_11target_archE1200ELNS1_3gpuE4ELNS1_3repE0EEENS1_30default_config_static_selectorELNS0_4arch9wavefront6targetE1EEEvSP_
    .private_segment_fixed_size: 0
    .sgpr_count:     4
    .sgpr_spill_count: 0
    .symbol:         _ZN7rocprim17ROCPRIM_400000_NS6detail17trampoline_kernelINS0_14default_configENS1_21merge_config_selectorIiNS0_10empty_typeEEEZNS1_10merge_implIS3_N6thrust23THRUST_200600_302600_NS6detail15normal_iteratorINS9_10device_ptrIKiEEEESF_NSB_INSC_IiEEEEPS5_SI_SI_NS9_4lessIiEEEE10hipError_tPvRmT0_T1_T2_T3_T4_T5_mmT6_P12ihipStream_tbEUlT_E0_NS1_11comp_targetILNS1_3genE10ELNS1_11target_archE1200ELNS1_3gpuE4ELNS1_3repE0EEENS1_30default_config_static_selectorELNS0_4arch9wavefront6targetE1EEEvSP_.kd
    .uniform_work_group_size: 1
    .uses_dynamic_stack: false
    .vgpr_count:     0
    .vgpr_spill_count: 0
    .wavefront_size: 64
  - .args:
      - .offset:         0
        .size:           88
        .value_kind:     by_value
    .group_segment_fixed_size: 0
    .kernarg_segment_align: 8
    .kernarg_segment_size: 88
    .language:       OpenCL C
    .language_version:
      - 2
      - 0
    .max_flat_workgroup_size: 1024
    .name:           _ZN7rocprim17ROCPRIM_400000_NS6detail17trampoline_kernelINS0_14default_configENS1_21merge_config_selectorIiNS0_10empty_typeEEEZNS1_10merge_implIS3_N6thrust23THRUST_200600_302600_NS6detail15normal_iteratorINS9_10device_ptrIKiEEEESF_NSB_INSC_IiEEEEPS5_SI_SI_NS9_4lessIiEEEE10hipError_tPvRmT0_T1_T2_T3_T4_T5_mmT6_P12ihipStream_tbEUlT_E0_NS1_11comp_targetILNS1_3genE9ELNS1_11target_archE1100ELNS1_3gpuE3ELNS1_3repE0EEENS1_30default_config_static_selectorELNS0_4arch9wavefront6targetE1EEEvSP_
    .private_segment_fixed_size: 0
    .sgpr_count:     4
    .sgpr_spill_count: 0
    .symbol:         _ZN7rocprim17ROCPRIM_400000_NS6detail17trampoline_kernelINS0_14default_configENS1_21merge_config_selectorIiNS0_10empty_typeEEEZNS1_10merge_implIS3_N6thrust23THRUST_200600_302600_NS6detail15normal_iteratorINS9_10device_ptrIKiEEEESF_NSB_INSC_IiEEEEPS5_SI_SI_NS9_4lessIiEEEE10hipError_tPvRmT0_T1_T2_T3_T4_T5_mmT6_P12ihipStream_tbEUlT_E0_NS1_11comp_targetILNS1_3genE9ELNS1_11target_archE1100ELNS1_3gpuE3ELNS1_3repE0EEENS1_30default_config_static_selectorELNS0_4arch9wavefront6targetE1EEEvSP_.kd
    .uniform_work_group_size: 1
    .uses_dynamic_stack: false
    .vgpr_count:     0
    .vgpr_spill_count: 0
    .wavefront_size: 64
  - .args:
      - .offset:         0
        .size:           88
        .value_kind:     by_value
    .group_segment_fixed_size: 0
    .kernarg_segment_align: 8
    .kernarg_segment_size: 88
    .language:       OpenCL C
    .language_version:
      - 2
      - 0
    .max_flat_workgroup_size: 1024
    .name:           _ZN7rocprim17ROCPRIM_400000_NS6detail17trampoline_kernelINS0_14default_configENS1_21merge_config_selectorIiNS0_10empty_typeEEEZNS1_10merge_implIS3_N6thrust23THRUST_200600_302600_NS6detail15normal_iteratorINS9_10device_ptrIKiEEEESF_NSB_INSC_IiEEEEPS5_SI_SI_NS9_4lessIiEEEE10hipError_tPvRmT0_T1_T2_T3_T4_T5_mmT6_P12ihipStream_tbEUlT_E0_NS1_11comp_targetILNS1_3genE8ELNS1_11target_archE1030ELNS1_3gpuE2ELNS1_3repE0EEENS1_30default_config_static_selectorELNS0_4arch9wavefront6targetE1EEEvSP_
    .private_segment_fixed_size: 0
    .sgpr_count:     4
    .sgpr_spill_count: 0
    .symbol:         _ZN7rocprim17ROCPRIM_400000_NS6detail17trampoline_kernelINS0_14default_configENS1_21merge_config_selectorIiNS0_10empty_typeEEEZNS1_10merge_implIS3_N6thrust23THRUST_200600_302600_NS6detail15normal_iteratorINS9_10device_ptrIKiEEEESF_NSB_INSC_IiEEEEPS5_SI_SI_NS9_4lessIiEEEE10hipError_tPvRmT0_T1_T2_T3_T4_T5_mmT6_P12ihipStream_tbEUlT_E0_NS1_11comp_targetILNS1_3genE8ELNS1_11target_archE1030ELNS1_3gpuE2ELNS1_3repE0EEENS1_30default_config_static_selectorELNS0_4arch9wavefront6targetE1EEEvSP_.kd
    .uniform_work_group_size: 1
    .uses_dynamic_stack: false
    .vgpr_count:     0
    .vgpr_spill_count: 0
    .wavefront_size: 64
  - .args:
      - .address_space:  global
        .offset:         0
        .size:           8
        .value_kind:     global_buffer
      - .offset:         8
        .size:           4
        .value_kind:     by_value
      - .address_space:  global
        .offset:         16
        .size:           8
        .value_kind:     global_buffer
      - .offset:         24
        .size:           4
        .value_kind:     by_value
      - .address_space:  global
        .offset:         32
        .size:           8
        .value_kind:     global_buffer
      - .offset:         40
        .size:           4
        .value_kind:     hidden_block_count_x
      - .offset:         44
        .size:           4
        .value_kind:     hidden_block_count_y
      - .offset:         48
        .size:           4
        .value_kind:     hidden_block_count_z
      - .offset:         52
        .size:           2
        .value_kind:     hidden_group_size_x
      - .offset:         54
        .size:           2
        .value_kind:     hidden_group_size_y
      - .offset:         56
        .size:           2
        .value_kind:     hidden_group_size_z
      - .offset:         58
        .size:           2
        .value_kind:     hidden_remainder_x
      - .offset:         60
        .size:           2
        .value_kind:     hidden_remainder_y
      - .offset:         62
        .size:           2
        .value_kind:     hidden_remainder_z
      - .offset:         80
        .size:           8
        .value_kind:     hidden_global_offset_x
      - .offset:         88
        .size:           8
        .value_kind:     hidden_global_offset_y
      - .offset:         96
        .size:           8
        .value_kind:     hidden_global_offset_z
      - .offset:         104
        .size:           2
        .value_kind:     hidden_grid_dims
    .group_segment_fixed_size: 0
    .kernarg_segment_align: 8
    .kernarg_segment_size: 296
    .language:       OpenCL C
    .language_version:
      - 2
      - 0
    .max_flat_workgroup_size: 256
    .name:           _ZN7rocprim17ROCPRIM_400000_NS6detail31init_lookback_scan_state_kernelINS1_19lookback_scan_stateIlLb0ELb1EEENS1_16ordered_block_idIjEEEEvT_jT0_jPNS7_10value_typeE
    .private_segment_fixed_size: 0
    .sgpr_count:     19
    .sgpr_spill_count: 0
    .symbol:         _ZN7rocprim17ROCPRIM_400000_NS6detail31init_lookback_scan_state_kernelINS1_19lookback_scan_stateIlLb0ELb1EEENS1_16ordered_block_idIjEEEEvT_jT0_jPNS7_10value_typeE.kd
    .uniform_work_group_size: 1
    .uses_dynamic_stack: false
    .vgpr_count:     8
    .vgpr_spill_count: 0
    .wavefront_size: 64
  - .args:
      - .offset:         0
        .size:           48
        .value_kind:     by_value
      - .offset:         48
        .size:           4
        .value_kind:     by_value
      - .offset:         52
        .size:           4
        .value_kind:     by_value
    .group_segment_fixed_size: 0
    .kernarg_segment_align: 8
    .kernarg_segment_size: 56
    .language:       OpenCL C
    .language_version:
      - 2
      - 0
    .max_flat_workgroup_size: 256
    .name:           _ZN6thrust23THRUST_200600_302600_NS11hip_rocprim14__parallel_for6kernelILj256EZNS1_16__set_operations9doit_stepILb0ENS0_6detail15normal_iteratorINS0_10device_ptrIKiEEEESB_PiSC_lNS7_INS8_IiEEEESC_NS0_4lessIiEENS4_16serial_set_unionEEE10hipError_tPvRmT0_T1_T2_T3_T4_SP_T5_T6_PSP_T7_T8_P12ihipStream_tbEUllE_jLj1EEEvSL_SM_SM_
    .private_segment_fixed_size: 0
    .sgpr_count:     24
    .sgpr_spill_count: 0
    .symbol:         _ZN6thrust23THRUST_200600_302600_NS11hip_rocprim14__parallel_for6kernelILj256EZNS1_16__set_operations9doit_stepILb0ENS0_6detail15normal_iteratorINS0_10device_ptrIKiEEEESB_PiSC_lNS7_INS8_IiEEEESC_NS0_4lessIiEENS4_16serial_set_unionEEE10hipError_tPvRmT0_T1_T2_T3_T4_SP_T5_T6_PSP_T7_T8_P12ihipStream_tbEUllE_jLj1EEEvSL_SM_SM_.kd
    .uniform_work_group_size: 1
    .uses_dynamic_stack: false
    .vgpr_count:     25
    .vgpr_spill_count: 0
    .wavefront_size: 64
  - .args:
      - .address_space:  global
        .offset:         0
        .size:           8
        .value_kind:     global_buffer
      - .address_space:  global
        .offset:         8
        .size:           8
        .value_kind:     global_buffer
      - .address_space:  global
        .offset:         16
        .size:           8
        .value_kind:     global_buffer
      - .address_space:  global
        .offset:         24
        .size:           8
        .value_kind:     global_buffer
      - .address_space:  global
        .offset:         32
        .size:           8
        .value_kind:     global_buffer
      - .address_space:  global
        .offset:         40
        .size:           8
        .value_kind:     global_buffer
      - .offset:         48
        .size:           1
        .value_kind:     by_value
      - .offset:         49
        .size:           1
        .value_kind:     by_value
      - .address_space:  global
        .offset:         56
        .size:           8
        .value_kind:     global_buffer
      - .address_space:  global
        .offset:         64
        .size:           8
        .value_kind:     global_buffer
      - .address_space:  global
        .offset:         72
        .size:           8
        .value_kind:     global_buffer
      - .address_space:  global
        .offset:         80
        .size:           8
        .value_kind:     global_buffer
      - .offset:         88
        .size:           4
        .value_kind:     hidden_block_count_x
      - .offset:         92
        .size:           4
        .value_kind:     hidden_block_count_y
      - .offset:         96
        .size:           4
        .value_kind:     hidden_block_count_z
      - .offset:         100
        .size:           2
        .value_kind:     hidden_group_size_x
      - .offset:         102
        .size:           2
        .value_kind:     hidden_group_size_y
      - .offset:         104
        .size:           2
        .value_kind:     hidden_group_size_z
      - .offset:         106
        .size:           2
        .value_kind:     hidden_remainder_x
      - .offset:         108
        .size:           2
        .value_kind:     hidden_remainder_y
      - .offset:         110
        .size:           2
        .value_kind:     hidden_remainder_z
      - .offset:         128
        .size:           8
        .value_kind:     hidden_global_offset_x
      - .offset:         136
        .size:           8
        .value_kind:     hidden_global_offset_y
      - .offset:         144
        .size:           8
        .value_kind:     hidden_global_offset_z
      - .offset:         152
        .size:           2
        .value_kind:     hidden_grid_dims
    .group_segment_fixed_size: 36868
    .kernarg_segment_align: 8
    .kernarg_segment_size: 344
    .language:       OpenCL C
    .language_version:
      - 2
      - 0
    .max_flat_workgroup_size: 256
    .name:           _ZN6thrust23THRUST_200600_302600_NS11hip_rocprim16__set_operations22lookback_set_op_kernelIN7rocprim17ROCPRIM_400000_NS13kernel_configILj256ELj16ELj4294967295EEELb0ENS0_6detail15normal_iteratorINS0_10device_ptrIKiEEEESD_PiSE_lNS9_INSA_IiEEEESE_NS0_4lessIiEENS2_16serial_set_unionENS5_6detail19lookback_scan_stateIlLb0ELb1EEEEEvT1_T2_T3_T4_T6_T7_T8_T9_PNS0_4pairIT5_SW_EEPSW_T10_NSK_16ordered_block_idIjEE
    .private_segment_fixed_size: 0
    .sgpr_count:     68
    .sgpr_spill_count: 0
    .symbol:         _ZN6thrust23THRUST_200600_302600_NS11hip_rocprim16__set_operations22lookback_set_op_kernelIN7rocprim17ROCPRIM_400000_NS13kernel_configILj256ELj16ELj4294967295EEELb0ENS0_6detail15normal_iteratorINS0_10device_ptrIKiEEEESD_PiSE_lNS9_INSA_IiEEEESE_NS0_4lessIiEENS2_16serial_set_unionENS5_6detail19lookback_scan_stateIlLb0ELb1EEEEEvT1_T2_T3_T4_T6_T7_T8_T9_PNS0_4pairIT5_SW_EEPSW_T10_NSK_16ordered_block_idIjEE.kd
    .uniform_work_group_size: 1
    .uses_dynamic_stack: false
    .vgpr_count:     82
    .vgpr_spill_count: 0
    .wavefront_size: 64
  - .args:
      - .offset:         0
        .size:           48
        .value_kind:     by_value
      - .offset:         48
        .size:           4
        .value_kind:     by_value
      - .offset:         52
        .size:           4
        .value_kind:     by_value
    .group_segment_fixed_size: 0
    .kernarg_segment_align: 8
    .kernarg_segment_size: 56
    .language:       OpenCL C
    .language_version:
      - 2
      - 0
    .max_flat_workgroup_size: 256
    .name:           _ZN6thrust23THRUST_200600_302600_NS11hip_rocprim14__parallel_for6kernelILj256EZNS1_16__set_operations9doit_stepILb0ENS0_6detail15normal_iteratorINS0_10device_ptrIKiEEEESB_PiSC_lNS7_INS8_IiEEEESC_NS0_4lessIiEENS4_23serial_set_intersectionEEE10hipError_tPvRmT0_T1_T2_T3_T4_SP_T5_T6_PSP_T7_T8_P12ihipStream_tbEUllE_jLj1EEEvSL_SM_SM_
    .private_segment_fixed_size: 0
    .sgpr_count:     24
    .sgpr_spill_count: 0
    .symbol:         _ZN6thrust23THRUST_200600_302600_NS11hip_rocprim14__parallel_for6kernelILj256EZNS1_16__set_operations9doit_stepILb0ENS0_6detail15normal_iteratorINS0_10device_ptrIKiEEEESB_PiSC_lNS7_INS8_IiEEEESC_NS0_4lessIiEENS4_23serial_set_intersectionEEE10hipError_tPvRmT0_T1_T2_T3_T4_SP_T5_T6_PSP_T7_T8_P12ihipStream_tbEUllE_jLj1EEEvSL_SM_SM_.kd
    .uniform_work_group_size: 1
    .uses_dynamic_stack: false
    .vgpr_count:     25
    .vgpr_spill_count: 0
    .wavefront_size: 64
  - .args:
      - .address_space:  global
        .offset:         0
        .size:           8
        .value_kind:     global_buffer
      - .address_space:  global
        .offset:         8
        .size:           8
        .value_kind:     global_buffer
      - .address_space:  global
        .offset:         16
        .size:           8
        .value_kind:     global_buffer
      - .address_space:  global
        .offset:         24
        .size:           8
        .value_kind:     global_buffer
      - .address_space:  global
        .offset:         32
        .size:           8
        .value_kind:     global_buffer
      - .address_space:  global
        .offset:         40
        .size:           8
        .value_kind:     global_buffer
      - .offset:         48
        .size:           1
        .value_kind:     by_value
      - .offset:         49
        .size:           1
        .value_kind:     by_value
      - .address_space:  global
        .offset:         56
        .size:           8
        .value_kind:     global_buffer
      - .address_space:  global
        .offset:         64
        .size:           8
        .value_kind:     global_buffer
      - .address_space:  global
        .offset:         72
        .size:           8
        .value_kind:     global_buffer
      - .address_space:  global
        .offset:         80
        .size:           8
        .value_kind:     global_buffer
      - .offset:         88
        .size:           4
        .value_kind:     hidden_block_count_x
      - .offset:         92
        .size:           4
        .value_kind:     hidden_block_count_y
      - .offset:         96
        .size:           4
        .value_kind:     hidden_block_count_z
      - .offset:         100
        .size:           2
        .value_kind:     hidden_group_size_x
      - .offset:         102
        .size:           2
        .value_kind:     hidden_group_size_y
      - .offset:         104
        .size:           2
        .value_kind:     hidden_group_size_z
      - .offset:         106
        .size:           2
        .value_kind:     hidden_remainder_x
      - .offset:         108
        .size:           2
        .value_kind:     hidden_remainder_y
      - .offset:         110
        .size:           2
        .value_kind:     hidden_remainder_z
      - .offset:         128
        .size:           8
        .value_kind:     hidden_global_offset_x
      - .offset:         136
        .size:           8
        .value_kind:     hidden_global_offset_y
      - .offset:         144
        .size:           8
        .value_kind:     hidden_global_offset_z
      - .offset:         152
        .size:           2
        .value_kind:     hidden_grid_dims
    .group_segment_fixed_size: 36868
    .kernarg_segment_align: 8
    .kernarg_segment_size: 344
    .language:       OpenCL C
    .language_version:
      - 2
      - 0
    .max_flat_workgroup_size: 256
    .name:           _ZN6thrust23THRUST_200600_302600_NS11hip_rocprim16__set_operations22lookback_set_op_kernelIN7rocprim17ROCPRIM_400000_NS13kernel_configILj256ELj16ELj4294967295EEELb0ENS0_6detail15normal_iteratorINS0_10device_ptrIKiEEEESD_PiSE_lNS9_INSA_IiEEEESE_NS0_4lessIiEENS2_23serial_set_intersectionENS5_6detail19lookback_scan_stateIlLb0ELb1EEEEEvT1_T2_T3_T4_T6_T7_T8_T9_PNS0_4pairIT5_SW_EEPSW_T10_NSK_16ordered_block_idIjEE
    .private_segment_fixed_size: 0
    .sgpr_count:     36
    .sgpr_spill_count: 0
    .symbol:         _ZN6thrust23THRUST_200600_302600_NS11hip_rocprim16__set_operations22lookback_set_op_kernelIN7rocprim17ROCPRIM_400000_NS13kernel_configILj256ELj16ELj4294967295EEELb0ENS0_6detail15normal_iteratorINS0_10device_ptrIKiEEEESD_PiSE_lNS9_INSA_IiEEEESE_NS0_4lessIiEENS2_23serial_set_intersectionENS5_6detail19lookback_scan_stateIlLb0ELb1EEEEEvT1_T2_T3_T4_T6_T7_T8_T9_PNS0_4pairIT5_SW_EEPSW_T10_NSK_16ordered_block_idIjEE.kd
    .uniform_work_group_size: 1
    .uses_dynamic_stack: false
    .vgpr_count:     74
    .vgpr_spill_count: 0
    .wavefront_size: 64
  - .args:
      - .offset:         0
        .size:           48
        .value_kind:     by_value
      - .offset:         48
        .size:           4
        .value_kind:     by_value
      - .offset:         52
        .size:           4
        .value_kind:     by_value
    .group_segment_fixed_size: 0
    .kernarg_segment_align: 8
    .kernarg_segment_size: 56
    .language:       OpenCL C
    .language_version:
      - 2
      - 0
    .max_flat_workgroup_size: 256
    .name:           _ZN6thrust23THRUST_200600_302600_NS11hip_rocprim14__parallel_for6kernelILj256EZNS1_16__set_operations9doit_stepILb0ENS0_6detail15normal_iteratorINS0_10device_ptrIKiEEEESB_PiSC_lNS7_INS8_IiEEEESC_NS0_4lessIiEENS4_21serial_set_differenceEEE10hipError_tPvRmT0_T1_T2_T3_T4_SP_T5_T6_PSP_T7_T8_P12ihipStream_tbEUllE_jLj1EEEvSL_SM_SM_
    .private_segment_fixed_size: 0
    .sgpr_count:     24
    .sgpr_spill_count: 0
    .symbol:         _ZN6thrust23THRUST_200600_302600_NS11hip_rocprim14__parallel_for6kernelILj256EZNS1_16__set_operations9doit_stepILb0ENS0_6detail15normal_iteratorINS0_10device_ptrIKiEEEESB_PiSC_lNS7_INS8_IiEEEESC_NS0_4lessIiEENS4_21serial_set_differenceEEE10hipError_tPvRmT0_T1_T2_T3_T4_SP_T5_T6_PSP_T7_T8_P12ihipStream_tbEUllE_jLj1EEEvSL_SM_SM_.kd
    .uniform_work_group_size: 1
    .uses_dynamic_stack: false
    .vgpr_count:     25
    .vgpr_spill_count: 0
    .wavefront_size: 64
  - .args:
      - .address_space:  global
        .offset:         0
        .size:           8
        .value_kind:     global_buffer
      - .address_space:  global
        .offset:         8
        .size:           8
        .value_kind:     global_buffer
      - .address_space:  global
        .offset:         16
        .size:           8
        .value_kind:     global_buffer
      - .address_space:  global
        .offset:         24
        .size:           8
        .value_kind:     global_buffer
      - .address_space:  global
        .offset:         32
        .size:           8
        .value_kind:     global_buffer
      - .address_space:  global
        .offset:         40
        .size:           8
        .value_kind:     global_buffer
      - .offset:         48
        .size:           1
        .value_kind:     by_value
      - .offset:         49
        .size:           1
        .value_kind:     by_value
      - .address_space:  global
        .offset:         56
        .size:           8
        .value_kind:     global_buffer
      - .address_space:  global
        .offset:         64
        .size:           8
        .value_kind:     global_buffer
      - .address_space:  global
        .offset:         72
        .size:           8
        .value_kind:     global_buffer
      - .address_space:  global
        .offset:         80
        .size:           8
        .value_kind:     global_buffer
      - .offset:         88
        .size:           4
        .value_kind:     hidden_block_count_x
      - .offset:         92
        .size:           4
        .value_kind:     hidden_block_count_y
      - .offset:         96
        .size:           4
        .value_kind:     hidden_block_count_z
      - .offset:         100
        .size:           2
        .value_kind:     hidden_group_size_x
      - .offset:         102
        .size:           2
        .value_kind:     hidden_group_size_y
      - .offset:         104
        .size:           2
        .value_kind:     hidden_group_size_z
      - .offset:         106
        .size:           2
        .value_kind:     hidden_remainder_x
      - .offset:         108
        .size:           2
        .value_kind:     hidden_remainder_y
      - .offset:         110
        .size:           2
        .value_kind:     hidden_remainder_z
      - .offset:         128
        .size:           8
        .value_kind:     hidden_global_offset_x
      - .offset:         136
        .size:           8
        .value_kind:     hidden_global_offset_y
      - .offset:         144
        .size:           8
        .value_kind:     hidden_global_offset_z
      - .offset:         152
        .size:           2
        .value_kind:     hidden_grid_dims
    .group_segment_fixed_size: 36868
    .kernarg_segment_align: 8
    .kernarg_segment_size: 344
    .language:       OpenCL C
    .language_version:
      - 2
      - 0
    .max_flat_workgroup_size: 256
    .name:           _ZN6thrust23THRUST_200600_302600_NS11hip_rocprim16__set_operations22lookback_set_op_kernelIN7rocprim17ROCPRIM_400000_NS13kernel_configILj256ELj16ELj4294967295EEELb0ENS0_6detail15normal_iteratorINS0_10device_ptrIKiEEEESD_PiSE_lNS9_INSA_IiEEEESE_NS0_4lessIiEENS2_21serial_set_differenceENS5_6detail19lookback_scan_stateIlLb0ELb1EEEEEvT1_T2_T3_T4_T6_T7_T8_T9_PNS0_4pairIT5_SW_EEPSW_T10_NSK_16ordered_block_idIjEE
    .private_segment_fixed_size: 0
    .sgpr_count:     50
    .sgpr_spill_count: 0
    .symbol:         _ZN6thrust23THRUST_200600_302600_NS11hip_rocprim16__set_operations22lookback_set_op_kernelIN7rocprim17ROCPRIM_400000_NS13kernel_configILj256ELj16ELj4294967295EEELb0ENS0_6detail15normal_iteratorINS0_10device_ptrIKiEEEESD_PiSE_lNS9_INSA_IiEEEESE_NS0_4lessIiEENS2_21serial_set_differenceENS5_6detail19lookback_scan_stateIlLb0ELb1EEEEEvT1_T2_T3_T4_T6_T7_T8_T9_PNS0_4pairIT5_SW_EEPSW_T10_NSK_16ordered_block_idIjEE.kd
    .uniform_work_group_size: 1
    .uses_dynamic_stack: false
    .vgpr_count:     62
    .vgpr_spill_count: 0
    .wavefront_size: 64
  - .args:
      - .offset:         0
        .size:           48
        .value_kind:     by_value
      - .offset:         48
        .size:           4
        .value_kind:     by_value
      - .offset:         52
        .size:           4
        .value_kind:     by_value
    .group_segment_fixed_size: 0
    .kernarg_segment_align: 8
    .kernarg_segment_size: 56
    .language:       OpenCL C
    .language_version:
      - 2
      - 0
    .max_flat_workgroup_size: 256
    .name:           _ZN6thrust23THRUST_200600_302600_NS11hip_rocprim14__parallel_for6kernelILj256EZNS1_16__set_operations9doit_stepILb0ENS0_6detail15normal_iteratorINS0_10device_ptrIKiEEEESB_PiSC_lNS7_INS8_IiEEEESC_NS0_4lessIiEENS4_31serial_set_symmetric_differenceEEE10hipError_tPvRmT0_T1_T2_T3_T4_SP_T5_T6_PSP_T7_T8_P12ihipStream_tbEUllE_jLj1EEEvSL_SM_SM_
    .private_segment_fixed_size: 0
    .sgpr_count:     24
    .sgpr_spill_count: 0
    .symbol:         _ZN6thrust23THRUST_200600_302600_NS11hip_rocprim14__parallel_for6kernelILj256EZNS1_16__set_operations9doit_stepILb0ENS0_6detail15normal_iteratorINS0_10device_ptrIKiEEEESB_PiSC_lNS7_INS8_IiEEEESC_NS0_4lessIiEENS4_31serial_set_symmetric_differenceEEE10hipError_tPvRmT0_T1_T2_T3_T4_SP_T5_T6_PSP_T7_T8_P12ihipStream_tbEUllE_jLj1EEEvSL_SM_SM_.kd
    .uniform_work_group_size: 1
    .uses_dynamic_stack: false
    .vgpr_count:     25
    .vgpr_spill_count: 0
    .wavefront_size: 64
  - .args:
      - .address_space:  global
        .offset:         0
        .size:           8
        .value_kind:     global_buffer
      - .address_space:  global
        .offset:         8
        .size:           8
        .value_kind:     global_buffer
      - .address_space:  global
        .offset:         16
        .size:           8
        .value_kind:     global_buffer
      - .address_space:  global
        .offset:         24
        .size:           8
        .value_kind:     global_buffer
      - .address_space:  global
        .offset:         32
        .size:           8
        .value_kind:     global_buffer
      - .address_space:  global
        .offset:         40
        .size:           8
        .value_kind:     global_buffer
      - .offset:         48
        .size:           1
        .value_kind:     by_value
      - .offset:         49
        .size:           1
        .value_kind:     by_value
      - .address_space:  global
        .offset:         56
        .size:           8
        .value_kind:     global_buffer
      - .address_space:  global
        .offset:         64
        .size:           8
        .value_kind:     global_buffer
      - .address_space:  global
        .offset:         72
        .size:           8
        .value_kind:     global_buffer
      - .address_space:  global
        .offset:         80
        .size:           8
        .value_kind:     global_buffer
      - .offset:         88
        .size:           4
        .value_kind:     hidden_block_count_x
      - .offset:         92
        .size:           4
        .value_kind:     hidden_block_count_y
      - .offset:         96
        .size:           4
        .value_kind:     hidden_block_count_z
      - .offset:         100
        .size:           2
        .value_kind:     hidden_group_size_x
      - .offset:         102
        .size:           2
        .value_kind:     hidden_group_size_y
      - .offset:         104
        .size:           2
        .value_kind:     hidden_group_size_z
      - .offset:         106
        .size:           2
        .value_kind:     hidden_remainder_x
      - .offset:         108
        .size:           2
        .value_kind:     hidden_remainder_y
      - .offset:         110
        .size:           2
        .value_kind:     hidden_remainder_z
      - .offset:         128
        .size:           8
        .value_kind:     hidden_global_offset_x
      - .offset:         136
        .size:           8
        .value_kind:     hidden_global_offset_y
      - .offset:         144
        .size:           8
        .value_kind:     hidden_global_offset_z
      - .offset:         152
        .size:           2
        .value_kind:     hidden_grid_dims
    .group_segment_fixed_size: 36868
    .kernarg_segment_align: 8
    .kernarg_segment_size: 344
    .language:       OpenCL C
    .language_version:
      - 2
      - 0
    .max_flat_workgroup_size: 256
    .name:           _ZN6thrust23THRUST_200600_302600_NS11hip_rocprim16__set_operations22lookback_set_op_kernelIN7rocprim17ROCPRIM_400000_NS13kernel_configILj256ELj16ELj4294967295EEELb0ENS0_6detail15normal_iteratorINS0_10device_ptrIKiEEEESD_PiSE_lNS9_INSA_IiEEEESE_NS0_4lessIiEENS2_31serial_set_symmetric_differenceENS5_6detail19lookback_scan_stateIlLb0ELb1EEEEEvT1_T2_T3_T4_T6_T7_T8_T9_PNS0_4pairIT5_SW_EEPSW_T10_NSK_16ordered_block_idIjEE
    .private_segment_fixed_size: 0
    .sgpr_count:     84
    .sgpr_spill_count: 0
    .symbol:         _ZN6thrust23THRUST_200600_302600_NS11hip_rocprim16__set_operations22lookback_set_op_kernelIN7rocprim17ROCPRIM_400000_NS13kernel_configILj256ELj16ELj4294967295EEELb0ENS0_6detail15normal_iteratorINS0_10device_ptrIKiEEEESD_PiSE_lNS9_INSA_IiEEEESE_NS0_4lessIiEENS2_31serial_set_symmetric_differenceENS5_6detail19lookback_scan_stateIlLb0ELb1EEEEEvT1_T2_T3_T4_T6_T7_T8_T9_PNS0_4pairIT5_SW_EEPSW_T10_NSK_16ordered_block_idIjEE.kd
    .uniform_work_group_size: 1
    .uses_dynamic_stack: false
    .vgpr_count:     78
    .vgpr_spill_count: 0
    .wavefront_size: 64
  - .args:
      - .offset:         0
        .size:           48
        .value_kind:     by_value
      - .offset:         48
        .size:           4
        .value_kind:     by_value
      - .offset:         52
        .size:           4
        .value_kind:     by_value
    .group_segment_fixed_size: 0
    .kernarg_segment_align: 8
    .kernarg_segment_size: 56
    .language:       OpenCL C
    .language_version:
      - 2
      - 0
    .max_flat_workgroup_size: 256
    .name:           _ZN6thrust23THRUST_200600_302600_NS11hip_rocprim14__parallel_for6kernelILj256EZNS1_16__set_operations9doit_stepILb0ENS0_6detail15normal_iteratorINS0_10device_ptrIKiEEEESB_PiSC_lNS0_16discard_iteratorINS0_11use_defaultEEESC_NS0_4lessIiEENS4_23serial_set_intersectionEEE10hipError_tPvRmT0_T1_T2_T3_T4_SQ_T5_T6_PSQ_T7_T8_P12ihipStream_tbEUllE_jLj1EEEvSM_SN_SN_
    .private_segment_fixed_size: 0
    .sgpr_count:     24
    .sgpr_spill_count: 0
    .symbol:         _ZN6thrust23THRUST_200600_302600_NS11hip_rocprim14__parallel_for6kernelILj256EZNS1_16__set_operations9doit_stepILb0ENS0_6detail15normal_iteratorINS0_10device_ptrIKiEEEESB_PiSC_lNS0_16discard_iteratorINS0_11use_defaultEEESC_NS0_4lessIiEENS4_23serial_set_intersectionEEE10hipError_tPvRmT0_T1_T2_T3_T4_SQ_T5_T6_PSQ_T7_T8_P12ihipStream_tbEUllE_jLj1EEEvSM_SN_SN_.kd
    .uniform_work_group_size: 1
    .uses_dynamic_stack: false
    .vgpr_count:     25
    .vgpr_spill_count: 0
    .wavefront_size: 64
  - .args:
      - .address_space:  global
        .offset:         0
        .size:           8
        .value_kind:     global_buffer
      - .address_space:  global
        .offset:         8
        .size:           8
        .value_kind:     global_buffer
      - .address_space:  global
        .offset:         16
        .size:           8
        .value_kind:     global_buffer
      - .address_space:  global
        .offset:         24
        .size:           8
        .value_kind:     global_buffer
      - .offset:         32
        .size:           16
        .value_kind:     by_value
      - .address_space:  global
        .offset:         48
        .size:           8
        .value_kind:     global_buffer
      - .offset:         56
        .size:           1
        .value_kind:     by_value
      - .offset:         57
        .size:           1
        .value_kind:     by_value
      - .address_space:  global
        .offset:         64
        .size:           8
        .value_kind:     global_buffer
      - .address_space:  global
        .offset:         72
        .size:           8
        .value_kind:     global_buffer
      - .address_space:  global
        .offset:         80
        .size:           8
        .value_kind:     global_buffer
      - .address_space:  global
        .offset:         88
        .size:           8
        .value_kind:     global_buffer
      - .offset:         96
        .size:           4
        .value_kind:     hidden_block_count_x
      - .offset:         100
        .size:           4
        .value_kind:     hidden_block_count_y
      - .offset:         104
        .size:           4
        .value_kind:     hidden_block_count_z
      - .offset:         108
        .size:           2
        .value_kind:     hidden_group_size_x
      - .offset:         110
        .size:           2
        .value_kind:     hidden_group_size_y
      - .offset:         112
        .size:           2
        .value_kind:     hidden_group_size_z
      - .offset:         114
        .size:           2
        .value_kind:     hidden_remainder_x
      - .offset:         116
        .size:           2
        .value_kind:     hidden_remainder_y
      - .offset:         118
        .size:           2
        .value_kind:     hidden_remainder_z
      - .offset:         136
        .size:           8
        .value_kind:     hidden_global_offset_x
      - .offset:         144
        .size:           8
        .value_kind:     hidden_global_offset_y
      - .offset:         152
        .size:           8
        .value_kind:     hidden_global_offset_z
      - .offset:         160
        .size:           2
        .value_kind:     hidden_grid_dims
    .group_segment_fixed_size: 36868
    .kernarg_segment_align: 8
    .kernarg_segment_size: 352
    .language:       OpenCL C
    .language_version:
      - 2
      - 0
    .max_flat_workgroup_size: 256
    .name:           _ZN6thrust23THRUST_200600_302600_NS11hip_rocprim16__set_operations22lookback_set_op_kernelIN7rocprim17ROCPRIM_400000_NS13kernel_configILj256ELj16ELj4294967295EEELb0ENS0_6detail15normal_iteratorINS0_10device_ptrIKiEEEESD_PiSE_lNS0_16discard_iteratorINS0_11use_defaultEEESE_NS0_4lessIiEENS2_23serial_set_intersectionENS5_6detail19lookback_scan_stateIlLb0ELb1EEEEEvT1_T2_T3_T4_T6_T7_T8_T9_PNS0_4pairIT5_SX_EEPSX_T10_NSL_16ordered_block_idIjEE
    .private_segment_fixed_size: 0
    .sgpr_count:     34
    .sgpr_spill_count: 0
    .symbol:         _ZN6thrust23THRUST_200600_302600_NS11hip_rocprim16__set_operations22lookback_set_op_kernelIN7rocprim17ROCPRIM_400000_NS13kernel_configILj256ELj16ELj4294967295EEELb0ENS0_6detail15normal_iteratorINS0_10device_ptrIKiEEEESD_PiSE_lNS0_16discard_iteratorINS0_11use_defaultEEESE_NS0_4lessIiEENS2_23serial_set_intersectionENS5_6detail19lookback_scan_stateIlLb0ELb1EEEEEvT1_T2_T3_T4_T6_T7_T8_T9_PNS0_4pairIT5_SX_EEPSX_T10_NSL_16ordered_block_idIjEE.kd
    .uniform_work_group_size: 1
    .uses_dynamic_stack: false
    .vgpr_count:     74
    .vgpr_spill_count: 0
    .wavefront_size: 64
amdhsa.target:   amdgcn-amd-amdhsa--gfx906
amdhsa.version:
  - 1
  - 2
...

	.end_amdgpu_metadata
